;; amdgpu-corpus repo=zjin-lcf/HeCBench kind=compiled arch=gfx1201 opt=O3
	.amdgcn_target "amdgcn-amd-amdhsa--gfx1201"
	.amdhsa_code_object_version 6
	.text
	.protected	_Z11cool_kernelidPKdPdi ; -- Begin function _Z11cool_kernelidPKdPdi
	.globl	_Z11cool_kernelidPKdPdi
	.p2align	8
	.type	_Z11cool_kernelidPKdPdi,@function
_Z11cool_kernelidPKdPdi:                ; @_Z11cool_kernelidPKdPdi
; %bb.0:
	s_clause 0x1
	s_load_b32 s2, s[0:1], 0x34
	s_load_b32 s3, s[0:1], 0x0
	s_wait_kmcnt 0x0
	s_and_b32 s2, s2, 0xffff
	s_delay_alu instid0(SALU_CYCLE_1)
	v_mad_co_u64_u32 v[0:1], null, ttmp9, s2, v[0:1]
	s_mov_b32 s2, exec_lo
	v_cmpx_gt_i32_e64 s3, v0
	s_cbranch_execz .LBB0_11
; %bb.1:
	s_clause 0x1
	s_load_b128 s[20:23], s[0:1], 0x8
	s_load_b32 s33, s[0:1], 0x20
	v_ashrrev_i32_e32 v1, 31, v0
	s_mov_b32 s6, 0x55555555
	s_mov_b32 s7, 0x3fe55555
	;; [unrolled: 1-line block ×4, first 2 shown]
	v_lshlrev_b64_e32 v[0:1], 3, v[0:1]
	s_mov_b32 s27, 0x3fba6564
	s_mov_b32 s31, 0x3fbdee67
	;; [unrolled: 1-line block ×12, first 2 shown]
	s_wait_kmcnt 0x0
	v_add_co_u32 v2, vcc_lo, s22, v0
	s_delay_alu instid0(VALU_DEP_1)
	v_add_co_ci_u32_e64 v3, null, s23, v1, vcc_lo
	s_mov_b32 s4, 0x924920da
	s_mov_b32 s5, 0x3fd24924
	;; [unrolled: 1-line block ×3, first 2 shown]
	global_load_b64 v[4:5], v[2:3], off
	s_mov_b32 s47, 0x3fd99999
	s_mov_b32 s45, 0xbfe55555
	;; [unrolled: 1-line block ×23, first 2 shown]
	s_wait_loadcnt 0x0
	v_cmp_gt_f64_e32 vcc_lo, 0x10000000, v[4:5]
	s_wait_alu 0xfffd
	v_cndmask_b32_e64 v2, 0, 0x100, vcc_lo
	s_delay_alu instid0(VALU_DEP_1) | instskip(NEXT) | instid1(VALU_DEP_1)
	v_ldexp_f64 v[2:3], v[4:5], v2
	v_rsq_f64_e32 v[6:7], v[2:3]
	s_delay_alu instid0(TRANS32_DEP_1) | instskip(SKIP_1) | instid1(VALU_DEP_1)
	v_mul_f64_e32 v[8:9], v[2:3], v[6:7]
	v_mul_f64_e32 v[6:7], 0.5, v[6:7]
	v_fma_f64 v[10:11], -v[6:7], v[8:9], 0.5
	s_delay_alu instid0(VALU_DEP_1) | instskip(SKIP_1) | instid1(VALU_DEP_2)
	v_fma_f64 v[8:9], v[8:9], v[10:11], v[8:9]
	v_fma_f64 v[6:7], v[6:7], v[10:11], v[6:7]
	v_fma_f64 v[10:11], -v[8:9], v[8:9], v[2:3]
	s_delay_alu instid0(VALU_DEP_1) | instskip(NEXT) | instid1(VALU_DEP_1)
	v_fma_f64 v[8:9], v[10:11], v[6:7], v[8:9]
	v_fma_f64 v[10:11], -v[8:9], v[8:9], v[2:3]
	s_delay_alu instid0(VALU_DEP_1) | instskip(SKIP_3) | instid1(VALU_DEP_3)
	v_fma_f64 v[6:7], v[10:11], v[6:7], v[8:9]
	v_cndmask_b32_e64 v8, 0, 0xffffff80, vcc_lo
	v_cmp_class_f64_e64 vcc_lo, v[2:3], 0x260
	v_div_scale_f64 v[10:11], null, 0x412e8480, 0x412e8480, v[4:5]
	v_ldexp_f64 v[6:7], v[6:7], v8
	v_div_scale_f64 v[8:9], null, 0x408f4000, 0x408f4000, v[4:5]
	s_delay_alu instid0(VALU_DEP_3) | instskip(SKIP_1) | instid1(VALU_DEP_2)
	v_rcp_f64_e32 v[16:17], v[10:11]
	s_wait_alu 0xfffd
	v_dual_cndmask_b32 v3, v7, v3 :: v_dual_cndmask_b32 v2, v6, v2
	s_delay_alu instid0(VALU_DEP_2) | instskip(NEXT) | instid1(TRANS32_DEP_2)
	v_rcp_f64_e32 v[14:15], v[8:9]
	v_fma_f64 v[22:23], -v[10:11], v[16:17], 1.0
	s_delay_alu instid0(VALU_DEP_2) | instskip(SKIP_1) | instid1(TRANS32_DEP_1)
	v_div_scale_f64 v[6:7], null, v[2:3], v[2:3], 1.0
	v_div_scale_f64 v[24:25], vcc_lo, 1.0, v[2:3], 1.0
	v_fma_f64 v[20:21], -v[8:9], v[14:15], 1.0
	s_delay_alu instid0(VALU_DEP_4) | instskip(NEXT) | instid1(VALU_DEP_4)
	v_fma_f64 v[16:17], v[16:17], v[22:23], v[16:17]
	v_rcp_f64_e32 v[12:13], v[6:7]
	s_delay_alu instid0(VALU_DEP_2) | instskip(NEXT) | instid1(VALU_DEP_2)
	v_fma_f64 v[14:15], v[14:15], v[20:21], v[14:15]
	v_fma_f64 v[22:23], -v[10:11], v[16:17], 1.0
	s_delay_alu instid0(TRANS32_DEP_1) | instskip(NEXT) | instid1(VALU_DEP_3)
	v_fma_f64 v[18:19], -v[6:7], v[12:13], 1.0
	v_fma_f64 v[20:21], -v[8:9], v[14:15], 1.0
	s_delay_alu instid0(VALU_DEP_3) | instskip(NEXT) | instid1(VALU_DEP_3)
	v_fma_f64 v[16:17], v[16:17], v[22:23], v[16:17]
	v_fma_f64 v[12:13], v[12:13], v[18:19], v[12:13]
	s_delay_alu instid0(VALU_DEP_3) | instskip(SKIP_1) | instid1(VALU_DEP_3)
	v_fma_f64 v[14:15], v[14:15], v[20:21], v[14:15]
	v_div_scale_f64 v[20:21], s3, v[4:5], 0x412e8480, v[4:5]
	v_fma_f64 v[18:19], -v[6:7], v[12:13], 1.0
	s_delay_alu instid0(VALU_DEP_2) | instskip(NEXT) | instid1(VALU_DEP_2)
	v_mul_f64_e32 v[28:29], v[20:21], v[16:17]
	v_fma_f64 v[12:13], v[12:13], v[18:19], v[12:13]
	v_div_scale_f64 v[18:19], s2, v[4:5], 0x408f4000, v[4:5]
	s_delay_alu instid0(VALU_DEP_3) | instskip(NEXT) | instid1(VALU_DEP_3)
	v_fma_f64 v[10:11], -v[10:11], v[28:29], v[20:21]
	v_mul_f64_e32 v[22:23], v[24:25], v[12:13]
	s_delay_alu instid0(VALU_DEP_3) | instskip(NEXT) | instid1(VALU_DEP_2)
	v_mul_f64_e32 v[26:27], v[18:19], v[14:15]
	v_fma_f64 v[6:7], -v[6:7], v[22:23], v[24:25]
	s_delay_alu instid0(VALU_DEP_2) | instskip(SKIP_1) | instid1(VALU_DEP_2)
	v_fma_f64 v[18:19], -v[8:9], v[26:27], v[18:19]
	s_wait_alu 0xfffd
	v_div_fmas_f64 v[8:9], v[6:7], v[12:13], v[22:23]
	s_mov_b32 vcc_lo, s2
	s_wait_alu 0xfffe
	s_delay_alu instid0(VALU_DEP_2) | instskip(SKIP_3) | instid1(VALU_DEP_1)
	v_div_fmas_f64 v[12:13], v[18:19], v[14:15], v[26:27]
	s_mov_b32 vcc_lo, s3
	s_wait_alu 0xfffe
	v_div_fmas_f64 v[6:7], v[10:11], v[16:17], v[28:29]
	v_div_fixup_f64 v[6:7], v[6:7], 0x412e8480, v[4:5]
	s_delay_alu instid0(VALU_DEP_1) | instskip(SKIP_1) | instid1(VALU_DEP_2)
	v_frexp_mant_f64_e64 v[10:11], |v[6:7]|
	v_cmp_eq_f64_e64 s3, 1.0, v[6:7]
	v_cmp_gt_f64_e32 vcc_lo, s[6:7], v[10:11]
	s_wait_alu 0xfffd
	v_cndmask_b32_e64 v14, 0, 1, vcc_lo
	s_delay_alu instid0(VALU_DEP_1) | instskip(NEXT) | instid1(VALU_DEP_1)
	v_ldexp_f64 v[10:11], v[10:11], v14
	v_add_f64_e32 v[14:15], 1.0, v[10:11]
	v_add_f64_e32 v[20:21], -1.0, v[10:11]
	s_delay_alu instid0(VALU_DEP_2) | instskip(SKIP_1) | instid1(VALU_DEP_1)
	v_rcp_f64_e32 v[16:17], v[14:15]
	v_add_f64_e32 v[22:23], -1.0, v[14:15]
	v_add_f64_e64 v[10:11], v[10:11], -v[22:23]
	s_delay_alu instid0(TRANS32_DEP_1) | instskip(NEXT) | instid1(VALU_DEP_1)
	v_fma_f64 v[18:19], -v[14:15], v[16:17], 1.0
	v_fma_f64 v[16:17], v[18:19], v[16:17], v[16:17]
	s_delay_alu instid0(VALU_DEP_1) | instskip(NEXT) | instid1(VALU_DEP_1)
	v_fma_f64 v[18:19], -v[14:15], v[16:17], 1.0
	v_fma_f64 v[16:17], v[18:19], v[16:17], v[16:17]
	s_delay_alu instid0(VALU_DEP_1) | instskip(NEXT) | instid1(VALU_DEP_1)
	v_mul_f64_e32 v[18:19], v[20:21], v[16:17]
	v_mul_f64_e32 v[24:25], v[14:15], v[18:19]
	s_delay_alu instid0(VALU_DEP_1) | instskip(NEXT) | instid1(VALU_DEP_1)
	v_fma_f64 v[14:15], v[18:19], v[14:15], -v[24:25]
	v_fma_f64 v[10:11], v[18:19], v[10:11], v[14:15]
	s_delay_alu instid0(VALU_DEP_1) | instskip(NEXT) | instid1(VALU_DEP_1)
	v_add_f64_e32 v[14:15], v[24:25], v[10:11]
	v_add_f64_e64 v[22:23], v[20:21], -v[14:15]
	v_add_f64_e64 v[24:25], v[14:15], -v[24:25]
	s_delay_alu instid0(VALU_DEP_2) | instskip(NEXT) | instid1(VALU_DEP_2)
	v_add_f64_e64 v[20:21], v[20:21], -v[22:23]
	v_add_f64_e64 v[10:11], v[24:25], -v[10:11]
	s_delay_alu instid0(VALU_DEP_2) | instskip(NEXT) | instid1(VALU_DEP_1)
	v_add_f64_e64 v[14:15], v[20:21], -v[14:15]
	v_add_f64_e32 v[10:11], v[10:11], v[14:15]
	s_delay_alu instid0(VALU_DEP_1) | instskip(NEXT) | instid1(VALU_DEP_1)
	v_add_f64_e32 v[10:11], v[22:23], v[10:11]
	v_mul_f64_e32 v[10:11], v[16:17], v[10:11]
	s_delay_alu instid0(VALU_DEP_1) | instskip(NEXT) | instid1(VALU_DEP_1)
	v_add_f64_e32 v[14:15], v[18:19], v[10:11]
	v_add_f64_e64 v[16:17], v[14:15], -v[18:19]
	v_mul_f64_e32 v[18:19], v[14:15], v[14:15]
	s_delay_alu instid0(VALU_DEP_2) | instskip(NEXT) | instid1(VALU_DEP_2)
	v_add_f64_e64 v[10:11], v[10:11], -v[16:17]
	v_fma_f64 v[16:17], v[14:15], v[14:15], -v[18:19]
	s_delay_alu instid0(VALU_DEP_2) | instskip(NEXT) | instid1(VALU_DEP_1)
	v_add_f64_e32 v[20:21], v[10:11], v[10:11]
	v_fma_f64 v[16:17], v[14:15], v[20:21], v[16:17]
	s_delay_alu instid0(VALU_DEP_1) | instskip(NEXT) | instid1(VALU_DEP_1)
	v_add_f64_e32 v[20:21], v[18:19], v[16:17]
	v_fma_f64 v[22:23], v[20:21], s[30:31], s[26:27]
	v_add_f64_e64 v[18:19], v[20:21], -v[18:19]
	v_mul_f64_e32 v[28:29], v[14:15], v[20:21]
	s_delay_alu instid0(VALU_DEP_3) | instskip(NEXT) | instid1(VALU_DEP_3)
	v_fma_f64 v[22:23], v[20:21], v[22:23], s[48:49]
	v_add_f64_e64 v[16:17], v[16:17], -v[18:19]
	s_delay_alu instid0(VALU_DEP_2) | instskip(NEXT) | instid1(VALU_DEP_1)
	v_fma_f64 v[22:23], v[20:21], v[22:23], s[34:35]
	v_fma_f64 v[22:23], v[20:21], v[22:23], s[28:29]
	s_delay_alu instid0(VALU_DEP_1) | instskip(NEXT) | instid1(VALU_DEP_1)
	v_fma_f64 v[22:23], v[20:21], v[22:23], s[10:11]
	v_fma_f64 v[22:23], v[20:21], v[22:23], s[14:15]
	s_delay_alu instid0(VALU_DEP_1) | instskip(NEXT) | instid1(VALU_DEP_1)
	;; [unrolled: 3-line block ×3, first 2 shown]
	v_mul_f64_e32 v[24:25], v[20:21], v[22:23]
	v_fma_f64 v[18:19], v[20:21], v[22:23], -v[24:25]
	s_delay_alu instid0(VALU_DEP_1) | instskip(NEXT) | instid1(VALU_DEP_1)
	v_fma_f64 v[18:19], v[16:17], v[22:23], v[18:19]
	v_add_f64_e32 v[22:23], v[24:25], v[18:19]
	s_delay_alu instid0(VALU_DEP_1) | instskip(SKIP_1) | instid1(VALU_DEP_2)
	v_add_f64_e32 v[26:27], s[6:7], v[22:23]
	v_add_f64_e64 v[24:25], v[22:23], -v[24:25]
	v_add_f64_e32 v[30:31], s[44:45], v[26:27]
	s_delay_alu instid0(VALU_DEP_2) | instskip(SKIP_1) | instid1(VALU_DEP_3)
	v_add_f64_e64 v[18:19], v[18:19], -v[24:25]
	v_fma_f64 v[24:25], v[20:21], v[14:15], -v[28:29]
	v_add_f64_e64 v[22:23], v[22:23], -v[30:31]
	s_delay_alu instid0(VALU_DEP_3) | instskip(NEXT) | instid1(VALU_DEP_3)
	v_add_f64_e32 v[18:19], s[42:43], v[18:19]
	v_fma_f64 v[20:21], v[20:21], v[10:11], v[24:25]
	v_ldexp_f64 v[10:11], v[10:11], 1
	s_delay_alu instid0(VALU_DEP_3) | instskip(NEXT) | instid1(VALU_DEP_3)
	v_add_f64_e32 v[18:19], v[18:19], v[22:23]
	v_fma_f64 v[16:17], v[16:17], v[14:15], v[20:21]
	s_delay_alu instid0(VALU_DEP_2) | instskip(NEXT) | instid1(VALU_DEP_2)
	v_add_f64_e32 v[20:21], v[26:27], v[18:19]
	v_add_f64_e32 v[22:23], v[28:29], v[16:17]
	s_delay_alu instid0(VALU_DEP_2) | instskip(NEXT) | instid1(VALU_DEP_2)
	v_add_f64_e64 v[24:25], v[26:27], -v[20:21]
	v_mul_f64_e32 v[26:27], v[22:23], v[20:21]
	v_add_f64_e64 v[28:29], v[22:23], -v[28:29]
	s_delay_alu instid0(VALU_DEP_3) | instskip(NEXT) | instid1(VALU_DEP_3)
	v_add_f64_e32 v[18:19], v[18:19], v[24:25]
	v_fma_f64 v[24:25], v[22:23], v[20:21], -v[26:27]
	s_delay_alu instid0(VALU_DEP_3) | instskip(NEXT) | instid1(VALU_DEP_2)
	v_add_f64_e64 v[16:17], v[16:17], -v[28:29]
	v_fma_f64 v[18:19], v[22:23], v[18:19], v[24:25]
	v_frexp_exp_i32_f64_e32 v24, v[6:7]
	s_delay_alu instid0(VALU_DEP_2) | instskip(SKIP_2) | instid1(VALU_DEP_3)
	v_fma_f64 v[16:17], v[16:17], v[20:21], v[18:19]
	v_frexp_mant_f64_e64 v[18:19], |v[4:5]|
	v_ldexp_f64 v[20:21], v[14:15], 1
	v_add_f64_e32 v[22:23], v[26:27], v[16:17]
	s_delay_alu instid0(VALU_DEP_3) | instskip(NEXT) | instid1(VALU_DEP_2)
	v_cmp_gt_f64_e64 s2, s[6:7], v[18:19]
	v_add_f64_e64 v[26:27], v[22:23], -v[26:27]
	s_wait_alu 0xf1ff
	s_delay_alu instid0(VALU_DEP_2) | instskip(SKIP_1) | instid1(VALU_DEP_2)
	v_cndmask_b32_e64 v14, 0, 1, s2
	v_add_f64_e32 v[28:29], v[20:21], v[22:23]
	v_ldexp_f64 v[18:19], v[18:19], v14
	v_subrev_co_ci_u32_e64 v14, null, 0, v24, vcc_lo
	s_delay_alu instid0(VALU_DEP_1)
	v_cvt_f64_i32_e32 v[24:25], v14
	v_div_fixup_f64 v[14:15], v[12:13], 0x408f4000, v[4:5]
	v_add_f64_e64 v[16:17], v[16:17], -v[26:27]
	v_add_f64_e64 v[20:21], v[28:29], -v[20:21]
	v_add_f64_e32 v[12:13], 1.0, v[18:19]
	v_add_f64_e32 v[40:41], -1.0, v[18:19]
	v_mul_f64_e32 v[30:31], s[38:39], v[24:25]
	v_frexp_mant_f64_e64 v[26:27], |v[14:15]|
	v_add_f64_e32 v[10:11], v[10:11], v[16:17]
	v_add_f64_e64 v[20:21], v[22:23], -v[20:21]
	v_rcp_f64_e32 v[32:33], v[12:13]
	v_add_f64_e32 v[46:47], -1.0, v[12:13]
	v_fma_f64 v[34:35], v[24:25], s[38:39], -v[30:31]
	v_cmp_gt_f64_e32 vcc_lo, s[6:7], v[26:27]
	s_delay_alu instid0(VALU_DEP_4) | instskip(NEXT) | instid1(VALU_DEP_4)
	v_add_f64_e32 v[10:11], v[10:11], v[20:21]
	v_add_f64_e64 v[18:19], v[18:19], -v[46:47]
	s_delay_alu instid0(TRANS32_DEP_1) | instskip(SKIP_3) | instid1(VALU_DEP_1)
	v_fma_f64 v[16:17], -v[12:13], v[32:33], 1.0
	v_fma_f64 v[24:25], v[24:25], s[40:41], v[34:35]
	s_wait_alu 0xfffd
	v_cndmask_b32_e64 v22, 0, 1, vcc_lo
	v_ldexp_f64 v[22:23], v[26:27], v22
	s_delay_alu instid0(VALU_DEP_4) | instskip(SKIP_2) | instid1(VALU_DEP_4)
	v_fma_f64 v[16:17], v[16:17], v[32:33], v[32:33]
	v_add_f64_e32 v[32:33], v[28:29], v[10:11]
	v_add_f64_e32 v[26:27], v[30:31], v[24:25]
	v_add_f64_e32 v[20:21], 1.0, v[22:23]
	s_delay_alu instid0(VALU_DEP_4) | instskip(NEXT) | instid1(VALU_DEP_4)
	v_fma_f64 v[34:35], -v[12:13], v[16:17], 1.0
	v_add_f64_e64 v[28:29], v[32:33], -v[28:29]
	s_delay_alu instid0(VALU_DEP_4) | instskip(SKIP_2) | instid1(VALU_DEP_4)
	v_add_f64_e32 v[38:39], v[26:27], v[32:33]
	v_add_f64_e64 v[30:31], v[26:27], -v[30:31]
	v_rcp_f64_e32 v[36:37], v[20:21]
	v_fma_f64 v[16:17], v[34:35], v[16:17], v[16:17]
	s_delay_alu instid0(VALU_DEP_4) | instskip(NEXT) | instid1(VALU_DEP_4)
	v_add_f64_e64 v[10:11], v[10:11], -v[28:29]
	v_add_f64_e64 v[42:43], v[38:39], -v[26:27]
	s_delay_alu instid0(VALU_DEP_4) | instskip(SKIP_1) | instid1(TRANS32_DEP_1)
	v_add_f64_e64 v[24:25], v[24:25], -v[30:31]
	v_add_f64_e32 v[30:31], -1.0, v[22:23]
	v_fma_f64 v[34:35], -v[20:21], v[36:37], 1.0
	v_mul_f64_e32 v[44:45], v[40:41], v[16:17]
	v_add_f64_e64 v[28:29], v[32:33], -v[42:43]
	s_delay_alu instid0(VALU_DEP_3) | instskip(SKIP_3) | instid1(VALU_DEP_4)
	v_fma_f64 v[34:35], v[34:35], v[36:37], v[36:37]
	v_add_f64_e64 v[36:37], v[38:39], -v[42:43]
	v_add_f64_e32 v[42:43], -1.0, v[20:21]
	v_mul_f64_e32 v[48:49], v[12:13], v[44:45]
	v_fma_f64 v[50:51], -v[20:21], v[34:35], 1.0
	s_delay_alu instid0(VALU_DEP_4) | instskip(NEXT) | instid1(VALU_DEP_4)
	v_add_f64_e64 v[26:27], v[26:27], -v[36:37]
	v_add_f64_e64 v[22:23], v[22:23], -v[42:43]
	s_delay_alu instid0(VALU_DEP_4) | instskip(NEXT) | instid1(VALU_DEP_4)
	v_fma_f64 v[12:13], v[44:45], v[12:13], -v[48:49]
	v_fma_f64 v[32:33], v[50:51], v[34:35], v[34:35]
	v_add_f64_e32 v[34:35], v[24:25], v[10:11]
	v_add_f64_e32 v[26:27], v[28:29], v[26:27]
	s_delay_alu instid0(VALU_DEP_4) | instskip(NEXT) | instid1(VALU_DEP_4)
	v_fma_f64 v[12:13], v[44:45], v[18:19], v[12:13]
	v_mul_f64_e32 v[28:29], v[30:31], v[32:33]
	s_delay_alu instid0(VALU_DEP_4) | instskip(NEXT) | instid1(VALU_DEP_4)
	v_add_f64_e64 v[18:19], v[34:35], -v[24:25]
	v_add_f64_e32 v[26:27], v[34:35], v[26:27]
	s_delay_alu instid0(VALU_DEP_4) | instskip(NEXT) | instid1(VALU_DEP_4)
	v_add_f64_e32 v[36:37], v[48:49], v[12:13]
	v_mul_f64_e32 v[46:47], v[20:21], v[28:29]
	s_delay_alu instid0(VALU_DEP_4) | instskip(NEXT) | instid1(VALU_DEP_4)
	v_add_f64_e64 v[34:35], v[34:35], -v[18:19]
	v_add_f64_e32 v[50:51], v[38:39], v[26:27]
	v_add_f64_e64 v[10:11], v[10:11], -v[18:19]
	v_add_f64_e64 v[52:53], v[40:41], -v[36:37]
	v_fma_f64 v[20:21], v[28:29], v[20:21], -v[46:47]
	v_add_f64_e64 v[18:19], v[24:25], -v[34:35]
	v_add_f64_e64 v[24:25], v[50:51], -v[38:39]
	v_add_f64_e64 v[34:35], v[36:37], -v[48:49]
	v_add_f64_e64 v[38:39], v[40:41], -v[52:53]
	v_fma_f64 v[20:21], v[28:29], v[22:23], v[20:21]
	v_add_f64_e32 v[10:11], v[10:11], v[18:19]
	v_add_f64_e64 v[18:19], v[26:27], -v[24:25]
	v_add_f64_e64 v[12:13], v[34:35], -v[12:13]
	v_mov_b32_e32 v26, 0x3ff00000
	v_add_f64_e64 v[22:23], v[38:39], -v[36:37]
	s_delay_alu instid0(VALU_DEP_2) | instskip(SKIP_1) | instid1(VALU_DEP_1)
	v_cndmask_b32_e64 v37, 0x3fe66666, v26, s3
	v_cndmask_b32_e64 v36, 0x66666666, 0, s3
	v_trunc_f64_e32 v[56:57], v[36:37]
	v_add_f64_e32 v[24:25], v[46:47], v[20:21]
	v_add_f64_e32 v[10:11], v[10:11], v[18:19]
	;; [unrolled: 1-line block ×3, first 2 shown]
	s_delay_alu instid0(VALU_DEP_3) | instskip(SKIP_1) | instid1(VALU_DEP_4)
	v_add_f64_e64 v[18:19], v[30:31], -v[24:25]
	v_add_f64_e64 v[34:35], v[24:25], -v[46:47]
	v_add_f64_e32 v[22:23], v[50:51], v[10:11]
	s_delay_alu instid0(VALU_DEP_4) | instskip(NEXT) | instid1(VALU_DEP_4)
	v_add_f64_e32 v[12:13], v[52:53], v[12:13]
	v_add_f64_e64 v[30:31], v[30:31], -v[18:19]
	s_delay_alu instid0(VALU_DEP_3) | instskip(SKIP_1) | instid1(VALU_DEP_4)
	v_add_f64_e64 v[38:39], v[22:23], -v[50:51]
	v_mul_f64_e32 v[40:41], v[36:37], v[22:23]
	v_mul_f64_e32 v[12:13], v[16:17], v[12:13]
	v_add_f64_e64 v[16:17], v[34:35], -v[20:21]
	v_add_f64_e64 v[24:25], v[30:31], -v[24:25]
	;; [unrolled: 1-line block ×3, first 2 shown]
	v_fma_f64 v[22:23], v[36:37], v[22:23], -v[40:41]
	v_cmp_class_f64_e64 s3, v[40:41], 0x204
	v_add_f64_e32 v[20:21], v[44:45], v[12:13]
	v_add_f64_e32 v[16:17], v[16:17], v[24:25]
	s_delay_alu instid0(VALU_DEP_4) | instskip(NEXT) | instid1(VALU_DEP_3)
	v_fma_f64 v[22:23], v[36:37], v[10:11], v[22:23]
	v_add_f64_e64 v[10:11], v[20:21], -v[44:45]
	v_mul_f64_e32 v[30:31], v[20:21], v[20:21]
	s_delay_alu instid0(VALU_DEP_4) | instskip(NEXT) | instid1(VALU_DEP_4)
	v_add_f64_e32 v[16:17], v[18:19], v[16:17]
	v_add_f64_e32 v[24:25], v[40:41], v[22:23]
	s_delay_alu instid0(VALU_DEP_4) | instskip(NEXT) | instid1(VALU_DEP_4)
	v_add_f64_e64 v[18:19], v[12:13], -v[10:11]
	v_fma_f64 v[34:35], v[20:21], v[20:21], -v[30:31]
	s_delay_alu instid0(VALU_DEP_4) | instskip(SKIP_1) | instid1(VALU_DEP_4)
	v_mul_f64_e32 v[10:11], v[32:33], v[16:17]
	s_wait_alu 0xf1ff
	v_cndmask_b32_e64 v17, v25, v41, s3
	v_cndmask_b32_e64 v16, v24, v40, s3
	v_add_f64_e64 v[24:25], v[24:25], -v[40:41]
	s_delay_alu instid0(VALU_DEP_2)
	v_mul_f64_e32 v[32:33], s[36:37], v[16:17]
	v_cmp_neq_f64_e64 s3, 0x7ff00000, |v[16:17]|
	v_add_f64_e32 v[38:39], v[18:19], v[18:19]
	v_add_f64_e32 v[12:13], v[28:29], v[10:11]
	v_add_f64_e64 v[22:23], v[22:23], -v[24:25]
	v_rndne_f64_e32 v[32:33], v[32:33]
	s_delay_alu instid0(VALU_DEP_4) | instskip(NEXT) | instid1(VALU_DEP_4)
	v_fma_f64 v[34:35], v[20:21], v[38:39], v[34:35]
	v_add_f64_e64 v[27:28], v[12:13], -v[28:29]
	v_mul_f64_e32 v[44:45], v[12:13], v[12:13]
	s_wait_alu 0xf1ff
	v_cndmask_b32_e64 v23, 0, v23, s3
	v_cndmask_b32_e64 v22, 0, v22, s3
	v_fma_f64 v[38:39], v[32:33], s[24:25], v[16:17]
	v_add_f64_e32 v[42:43], v[30:31], v[34:35]
	v_add_f64_e64 v[10:11], v[10:11], -v[27:28]
	v_fma_f64 v[46:47], v[12:13], v[12:13], -v[44:45]
	s_delay_alu instid0(VALU_DEP_4)
	v_fma_f64 v[27:28], v[32:33], s[16:17], v[38:39]
	v_cvt_i32_f64_e32 v33, v[32:33]
	v_fma_f64 v[38:39], v[42:43], s[30:31], s[26:27]
	v_add_f64_e64 v[29:30], v[42:43], -v[30:31]
	v_add_f64_e32 v[48:49], v[10:11], v[10:11]
	v_fma_f64 v[50:51], v[27:28], s[12:13], s[8:9]
	s_delay_alu instid0(VALU_DEP_4) | instskip(NEXT) | instid1(VALU_DEP_4)
	v_fma_f64 v[38:39], v[42:43], v[38:39], s[48:49]
	v_add_f64_e64 v[29:30], v[34:35], -v[29:30]
	s_delay_alu instid0(VALU_DEP_4) | instskip(NEXT) | instid1(VALU_DEP_4)
	v_fma_f64 v[46:47], v[12:13], v[48:49], v[46:47]
	v_fma_f64 v[48:49], v[27:28], v[50:51], s[18:19]
	s_delay_alu instid0(VALU_DEP_4) | instskip(NEXT) | instid1(VALU_DEP_3)
	v_fma_f64 v[38:39], v[42:43], v[38:39], s[34:35]
	v_add_f64_e32 v[50:51], v[44:45], v[46:47]
	s_delay_alu instid0(VALU_DEP_3) | instskip(NEXT) | instid1(VALU_DEP_3)
	v_fma_f64 v[48:49], v[27:28], v[48:49], s[22:23]
	v_fma_f64 v[38:39], v[42:43], v[38:39], s[28:29]
	s_delay_alu instid0(VALU_DEP_3)
	v_fma_f64 v[52:53], v[50:51], s[30:31], s[26:27]
	s_mov_b32 s26, 0x14761f6e
	s_mov_b32 s27, 0x3f2a01a0
	;; [unrolled: 1-line block ×4, first 2 shown]
	v_add_f64_e64 v[44:45], v[50:51], -v[44:45]
	s_wait_alu 0xfffe
	s_delay_alu instid0(VALU_DEP_4) | instskip(NEXT) | instid1(VALU_DEP_4)
	v_fma_f64 v[48:49], v[27:28], v[48:49], s[26:27]
	v_fma_f64 v[38:39], v[42:43], v[38:39], s[10:11]
	s_delay_alu instid0(VALU_DEP_4) | instskip(NEXT) | instid1(VALU_DEP_4)
	v_fma_f64 v[52:53], v[50:51], v[52:53], s[48:49]
	v_add_f64_e64 v[44:45], v[46:47], -v[44:45]
	s_delay_alu instid0(VALU_DEP_4) | instskip(NEXT) | instid1(VALU_DEP_4)
	v_fma_f64 v[48:49], v[27:28], v[48:49], s[30:31]
	v_fma_f64 v[38:39], v[42:43], v[38:39], s[14:15]
	s_delay_alu instid0(VALU_DEP_4) | instskip(SKIP_3) | instid1(VALU_DEP_3)
	v_fma_f64 v[52:53], v[50:51], v[52:53], s[34:35]
	s_mov_b32 s34, 0x11122322
	s_mov_b32 s35, 0x3f811111
	s_wait_alu 0xfffe
	v_fma_f64 v[48:49], v[27:28], v[48:49], s[34:35]
	s_delay_alu instid0(VALU_DEP_3) | instskip(NEXT) | instid1(VALU_DEP_3)
	v_fma_f64 v[38:39], v[42:43], v[38:39], s[4:5]
	v_fma_f64 v[52:53], v[50:51], v[52:53], s[28:29]
	s_mov_b32 s28, 0x555502a1
	s_mov_b32 s29, 0x3fa55555
	s_wait_alu 0xfffe
	s_delay_alu instid0(VALU_DEP_3) | instskip(NEXT) | instid1(VALU_DEP_3)
	v_fma_f64 v[48:49], v[27:28], v[48:49], s[28:29]
	v_fma_f64 v[38:39], v[42:43], v[38:39], s[46:47]
	s_delay_alu instid0(VALU_DEP_3) | instskip(SKIP_3) | instid1(VALU_DEP_3)
	v_fma_f64 v[52:53], v[50:51], v[52:53], s[10:11]
	s_mov_b32 s10, 0x55555511
	s_mov_b32 s11, 0x3fc55555
	s_wait_alu 0xfffe
	v_fma_f64 v[48:49], v[27:28], v[48:49], s[10:11]
	s_delay_alu instid0(VALU_DEP_3) | instskip(NEXT) | instid1(VALU_DEP_3)
	v_mul_f64_e32 v[54:55], v[42:43], v[38:39]
	v_fma_f64 v[52:53], v[50:51], v[52:53], s[14:15]
	s_mov_b32 s14, 11
	s_mov_b32 s15, 0x3fe00000
	s_wait_alu 0xfffe
	s_delay_alu instid0(VALU_DEP_3) | instskip(NEXT) | instid1(VALU_DEP_3)
	v_fma_f64 v[48:49], v[27:28], v[48:49], s[14:15]
	v_fma_f64 v[34:35], v[42:43], v[38:39], -v[54:55]
	s_delay_alu instid0(VALU_DEP_3)
	v_fma_f64 v[52:53], v[50:51], v[52:53], s[4:5]
	v_cmp_nlt_f64_e64 s4, 0x40900000, v[16:17]
	v_cmp_ngt_f64_e64 s5, 0xc090cc00, v[16:17]
	v_mul_f64_e32 v[16:17], 0.5, v[36:37]
	v_fma_f64 v[48:49], v[27:28], v[48:49], 1.0
	v_fma_f64 v[34:35], v[29:30], v[38:39], v[34:35]
	v_fma_f64 v[38:39], v[50:51], v[52:53], s[46:47]
	s_and_b32 s3, s5, s4
	s_delay_alu instid0(VALU_DEP_3) | instskip(NEXT) | instid1(VALU_DEP_3)
	v_fma_f64 v[27:28], v[27:28], v[48:49], 1.0
	v_add_f64_e32 v[31:32], v[54:55], v[34:35]
	s_delay_alu instid0(VALU_DEP_3) | instskip(NEXT) | instid1(VALU_DEP_3)
	v_mul_f64_e32 v[48:49], v[50:51], v[38:39]
	v_ldexp_f64 v[27:28], v[27:28], v33
	s_delay_alu instid0(VALU_DEP_3)
	v_add_f64_e64 v[40:41], v[31:32], -v[54:55]
	v_add_f64_e32 v[52:53], s[6:7], v[31:32]
	v_mul_f64_e32 v[54:55], v[20:21], v[42:43]
	v_fma_f64 v[46:47], v[50:51], v[38:39], -v[48:49]
	v_cndmask_b32_e64 v28, 0x7ff00000, v28, s4
	s_wait_alu 0xfffe
	v_cndmask_b32_e64 v27, 0, v27, s3
	s_delay_alu instid0(VALU_DEP_2) | instskip(SKIP_1) | instid1(VALU_DEP_2)
	v_cndmask_b32_e64 v28, 0, v28, s5
	v_cmp_eq_f64_e64 s5, v[56:57], v[36:37]
	v_fma_f64 v[22:23], v[27:28], v[22:23], v[27:28]
	v_cmp_class_f64_e64 s4, v[27:28], 0x204
	v_add_f64_e64 v[33:34], v[34:35], -v[40:41]
	v_add_f64_e32 v[24:25], s[44:45], v[52:53]
	v_fma_f64 v[40:41], v[42:43], v[20:21], -v[54:55]
	v_fma_f64 v[38:39], v[44:45], v[38:39], v[46:47]
	v_trunc_f64_e32 v[46:47], v[16:17]
	s_wait_alu 0xf1ff
	v_cndmask_b32_e64 v37, v23, v28, s4
	v_add_f64_e64 v[24:25], v[31:32], -v[24:25]
	v_add_f64_e32 v[31:32], s[42:43], v[33:34]
	v_fma_f64 v[40:41], v[42:43], v[18:19], v[40:41]
	v_cndmask_b32_e64 v43, v22, v27, s4
	v_cmp_gt_f64_e64 s4, 0, v[6:7]
	v_ldexp_f64 v[18:19], v[18:19], 1
	v_add_f64_e32 v[33:34], v[48:49], v[38:39]
	v_cmp_neq_f64_e64 s3, v[46:47], v[16:17]
	v_add_f64_e32 v[31:32], v[31:32], v[24:25]
	v_fma_f64 v[29:30], v[29:30], v[20:21], v[40:41]
	v_mul_f64_e32 v[24:25], v[12:13], v[50:51]
	v_ldexp_f64 v[20:21], v[20:21], 1
	v_add_f64_e32 v[35:36], s[6:7], v[33:34]
	v_add_f64_e64 v[16:17], v[33:34], -v[48:49]
	s_and_b32 s3, s5, s3
	v_cndmask_b32_e64 v48, 0, v43, s5
	s_wait_alu 0xfffe
	v_cndmask_b32_e64 v40, 0x3ff00000, v7, s3
	v_cmp_class_f64_e64 s6, v[6:7], 0x204
	s_delay_alu instid0(VALU_DEP_3) | instskip(NEXT) | instid1(VALU_DEP_3)
	v_cndmask_b32_e64 v43, v43, v48, s4
	v_bfi_b32 v49, 0x7fffffff, v37, v40
	s_delay_alu instid0(VALU_DEP_1)
	v_cndmask_b32_e64 v56, 0x7ff80000, v49, s5
	v_cmp_eq_f64_e64 s5, 0, v[6:7]
	v_add_f64_e32 v[27:28], v[52:53], v[31:32]
	v_add_f64_e32 v[22:23], s[44:45], v[35:36]
	v_add_f64_e64 v[16:17], v[38:39], -v[16:17]
	v_add_f64_e32 v[39:40], v[54:55], v[29:30]
	v_fma_f64 v[37:38], v[50:51], v[12:13], -v[24:25]
	s_wait_alu 0xf1ff
	v_cndmask_b32_e64 v57, 0x7ff00000, 0, s5
	v_add_f64_e64 v[41:42], v[52:53], -v[27:28]
	v_add_f64_e64 v[22:23], v[33:34], -v[22:23]
	v_add_f64_e32 v[33:34], s[42:43], v[16:17]
	v_cndmask_b32_e64 v16, 0, v7, s3
	v_cndmask_b32_e64 v17, v49, v56, s4
	s_or_b32 s3, s5, s6
	v_mul_f64_e32 v[46:47], v[39:40], v[27:28]
	v_fma_f64 v[37:38], v[50:51], v[10:11], v[37:38]
	v_bfi_b32 v48, 0x7fffffff, v57, v16
	s_wait_alu 0xfffe
	v_cndmask_b32_e64 v16, v43, 0, s3
	s_mov_b32 s42, 0xcccccccd
	s_mov_b32 s43, 0xc1034388
	v_div_scale_f64 v[50:51], null, v[4:5], v[4:5], 0xc0f6f300
	v_cndmask_b32_e64 v17, v17, v48, s3
	v_add_f64_e64 v[48:49], v[39:40], -v[54:55]
	s_wait_alu 0xfffe
	v_div_scale_f64 v[52:53], null, v[4:5], v[4:5], s[42:43]
	v_div_scale_f64 v[55:56], null, 0x40f86a00, 0x40f86a00, v[4:5]
	v_add_f64_e32 v[16:17], 1.0, v[16:17]
	v_frexp_exp_i32_f64_e32 v54, v[4:5]
	v_ldexp_f64 v[10:11], v[10:11], 1
	v_add_f64_e32 v[31:32], v[31:32], v[41:42]
	v_add_f64_e32 v[33:34], v[33:34], v[22:23]
	v_fma_f64 v[41:42], v[39:40], v[27:28], -v[46:47]
	v_fma_f64 v[37:38], v[44:45], v[12:13], v[37:38]
	v_div_scale_f64 v[43:44], null, v[4:5], v[4:5], 0xc11cafc0
	v_ldexp_f64 v[12:13], v[12:13], 1
	v_rcp_f64_e32 v[59:60], v[50:51]
	v_add_f64_e64 v[29:30], v[29:30], -v[48:49]
	v_rcp_f64_e32 v[61:62], v[52:53]
	v_rcp_f64_e32 v[63:64], v[55:56]
	v_div_scale_f64 v[22:23], null, v[16:17], v[16:17], 1.0
	v_subrev_co_ci_u32_e64 v45, null, 0, v54, s2
	v_add_f64_e32 v[48:49], v[35:36], v[33:34]
	v_fma_f64 v[31:32], v[39:40], v[31:32], v[41:42]
	v_add_f64_e32 v[57:58], v[24:25], v[37:38]
	v_rcp_f64_e32 v[41:42], v[43:44]
	v_fma_f64 v[67:68], -v[50:51], v[59:60], 1.0
	s_delay_alu instid0(TRANS32_DEP_3) | instskip(SKIP_1) | instid1(TRANS32_DEP_3)
	v_fma_f64 v[69:70], -v[52:53], v[61:62], 1.0
	v_rcp_f64_e32 v[39:40], v[22:23]
	v_fma_f64 v[71:72], -v[55:56], v[63:64], 1.0
	v_add_f64_e64 v[35:36], v[35:36], -v[48:49]
	v_fma_f64 v[27:28], v[29:30], v[27:28], v[31:32]
	v_mul_f64_e32 v[65:66], v[57:58], v[48:49]
	v_add_f64_e64 v[24:25], v[57:58], -v[24:25]
	s_delay_alu instid0(TRANS32_DEP_2) | instskip(NEXT) | instid1(TRANS32_DEP_1)
	v_fma_f64 v[31:32], -v[43:44], v[41:42], 1.0
	v_fma_f64 v[29:30], -v[22:23], v[39:40], 1.0
	v_add_f64_e32 v[33:34], v[33:34], v[35:36]
	v_add_f64_e32 v[73:74], v[46:47], v[27:28]
	v_fma_f64 v[35:36], v[57:58], v[48:49], -v[65:66]
	v_add_f64_e64 v[24:25], v[37:38], -v[24:25]
	v_fma_f64 v[31:32], v[41:42], v[31:32], v[41:42]
	v_fma_f64 v[41:42], v[61:62], v[69:70], v[61:62]
	v_cvt_f64_i32_e32 v[61:62], v45
	v_fma_f64 v[29:30], v[39:40], v[29:30], v[39:40]
	v_fma_f64 v[39:40], v[59:60], v[67:68], v[59:60]
	;; [unrolled: 1-line block ×3, first 2 shown]
	v_add_f64_e64 v[37:38], v[73:74], -v[46:47]
	v_fma_f64 v[33:34], v[57:58], v[33:34], v[35:36]
	v_add_f64_e32 v[35:36], v[20:21], v[73:74]
	v_fma_f64 v[57:58], -v[43:44], v[31:32], 1.0
	v_fma_f64 v[67:68], -v[52:53], v[41:42], 1.0
	v_mul_f64_e32 v[71:72], s[38:39], v[61:62]
	v_fma_f64 v[45:46], -v[22:23], v[29:30], 1.0
	v_fma_f64 v[63:64], -v[50:51], v[39:40], 1.0
	;; [unrolled: 1-line block ×3, first 2 shown]
	v_add_f64_e64 v[27:28], v[27:28], -v[37:38]
	v_fma_f64 v[24:25], v[24:25], v[48:49], v[33:34]
	v_add_f64_e64 v[20:21], v[35:36], -v[20:21]
	v_div_scale_f64 v[33:34], s2, 1.0, v[16:17], 1.0
	v_div_scale_f64 v[37:38], s3, 0xc11cafc0, v[4:5], 0xc11cafc0
	v_fma_f64 v[31:32], v[31:32], v[57:58], v[31:32]
	v_div_scale_f64 v[47:48], s5, s[42:43], v[4:5], s[42:43]
	v_fma_f64 v[41:42], v[41:42], v[67:68], v[41:42]
	v_div_scale_f64 v[57:58], s6, v[4:5], 0x40f86a00, v[4:5]
	v_frexp_exp_i32_f64_e32 v49, v[14:15]
	v_fma_f64 v[29:30], v[29:30], v[45:46], v[29:30]
	v_div_scale_f64 v[45:46], s4, 0xc0f6f300, v[4:5], 0xc0f6f300
	v_fma_f64 v[39:40], v[39:40], v[63:64], v[39:40]
	v_fma_f64 v[59:60], v[59:60], v[69:70], v[59:60]
	v_fma_f64 v[63:64], v[61:62], s[38:39], -v[71:72]
	v_add_f64_e32 v[18:19], v[18:19], v[27:28]
	v_add_f64_e32 v[67:68], v[65:66], v[24:25]
	v_add_f64_e64 v[20:21], v[73:74], -v[20:21]
	v_mul_f64_e32 v[69:70], v[37:38], v[31:32]
	v_mul_f64_e32 v[75:76], v[47:48], v[41:42]
	v_subrev_co_ci_u32_e64 v49, null, 0, v49, vcc_lo
	s_mov_b32 vcc_lo, s2
	v_mul_f64_e32 v[27:28], v[33:34], v[29:30]
	v_cmp_eq_f64_e64 s2, 1.0, v[4:5]
	v_mul_f64_e32 v[73:74], v[45:46], v[39:40]
	v_mul_f64_e32 v[77:78], v[57:58], v[59:60]
	v_fma_f64 v[61:62], v[61:62], s[40:41], v[63:64]
	v_cvt_f64_i32_e32 v[63:64], v49
	v_add_f64_e32 v[79:80], v[12:13], v[67:68]
	v_add_f64_e32 v[20:21], v[18:19], v[20:21]
	v_add_f64_e64 v[65:66], v[67:68], -v[65:66]
	v_fma_f64 v[18:19], -v[22:23], v[27:28], v[33:34]
	v_fma_f64 v[22:23], -v[43:44], v[69:70], v[37:38]
	;; [unrolled: 1-line block ×5, first 2 shown]
	v_add_f64_e32 v[45:46], v[71:72], v[61:62]
	v_mul_f64_e32 v[47:48], s[38:39], v[63:64]
	v_add_f64_e64 v[12:13], v[79:80], -v[12:13]
	v_add_f64_e32 v[49:50], v[35:36], v[20:21]
	v_add_f64_e64 v[24:25], v[24:25], -v[65:66]
	v_div_scale_f64 v[65:66], null, v[4:5], v[4:5], 0xc12345b6
	s_wait_alu 0xfffe
	v_div_fmas_f64 v[18:19], v[18:19], v[29:30], v[27:28]
	s_mov_b32 vcc_lo, s3
	s_wait_alu 0xfffe
	v_div_fmas_f64 v[22:23], v[22:23], v[31:32], v[69:70]
	s_mov_b32 vcc_lo, s4
	;; [unrolled: 3-line block ×3, first 2 shown]
	v_fma_f64 v[33:34], v[63:64], s[38:39], -v[47:48]
	s_wait_alu 0xfffe
	v_div_fmas_f64 v[29:30], v[37:38], v[41:42], v[75:76]
	s_mov_b32 vcc_lo, s6
	v_add_f64_e64 v[37:38], v[45:46], -v[71:72]
	s_wait_alu 0xfffe
	v_div_fmas_f64 v[31:32], v[43:44], v[59:60], v[77:78]
	s_mov_b32 s6, 0x9999999a
	s_mov_b32 s7, 0xc1116a5d
	v_add_f64_e64 v[12:13], v[67:68], -v[12:13]
	v_add_f64_e64 v[35:36], v[49:50], -v[35:36]
	v_add_f64_e32 v[10:11], v[10:11], v[24:25]
	v_add_f64_e32 v[24:25], v[45:46], v[49:50]
	v_div_fixup_f64 v[16:17], v[18:19], v[16:17], 1.0
	v_div_fixup_f64 v[22:23], v[22:23], v[4:5], 0xc11cafc0
	v_fma_f64 v[33:34], v[63:64], s[40:41], v[33:34]
	v_add_f64_e64 v[37:38], v[61:62], -v[37:38]
	v_div_fixup_f64 v[31:32], v[31:32], 0x40f86a00, v[4:5]
	v_add_f64_e64 v[20:21], v[20:21], -v[35:36]
	v_add_f64_e32 v[10:11], v[10:11], v[12:13]
	v_add_f64_e64 v[12:13], v[24:25], -v[45:46]
	s_delay_alu instid0(VALU_DEP_4) | instskip(NEXT) | instid1(VALU_DEP_3)
	v_cmp_gt_f64_e32 vcc_lo, 0x10000000, v[31:32]
	v_add_f64_e32 v[41:42], v[79:80], v[10:11]
	s_delay_alu instid0(VALU_DEP_3) | instskip(SKIP_3) | instid1(VALU_DEP_1)
	v_add_f64_e64 v[43:44], v[24:25], -v[12:13]
	v_add_f64_e64 v[12:13], v[49:50], -v[12:13]
	s_wait_alu 0xfffd
	v_cndmask_b32_e64 v39, 0, 0x100, vcc_lo
	v_ldexp_f64 v[31:32], v[31:32], v39
	v_add_f64_e32 v[39:40], v[47:48], v[33:34]
	v_add_f64_e64 v[43:44], v[45:46], -v[43:44]
	v_add_f64_e32 v[45:46], v[37:38], v[20:21]
	s_delay_alu instid0(VALU_DEP_4) | instskip(NEXT) | instid1(VALU_DEP_3)
	v_rsq_f64_e32 v[51:52], v[31:32]
	v_add_f64_e32 v[35:36], v[39:40], v[41:42]
	s_delay_alu instid0(VALU_DEP_3) | instskip(SKIP_4) | instid1(TRANS32_DEP_1)
	v_add_f64_e32 v[12:13], v[12:13], v[43:44]
	v_add_f64_e64 v[43:44], v[39:40], -v[47:48]
	v_add_f64_e64 v[47:48], v[41:42], -v[79:80]
	;; [unrolled: 1-line block ×4, first 2 shown]
	v_mul_f64_e32 v[49:50], v[31:32], v[51:52]
	v_mul_f64_e32 v[51:52], 0.5, v[51:52]
	v_add_f64_e32 v[12:13], v[45:46], v[12:13]
	v_add_f64_e64 v[33:34], v[33:34], -v[43:44]
	v_add_f64_e64 v[10:11], v[10:11], -v[47:48]
	;; [unrolled: 1-line block ×6, first 2 shown]
	v_fma_f64 v[59:60], -v[51:52], v[49:50], 0.5
	v_add_f64_e32 v[47:48], v[24:25], v[12:13]
	v_add_f64_e64 v[37:38], v[37:38], -v[43:44]
	v_add_f64_e64 v[39:40], v[39:40], -v[61:62]
	s_delay_alu instid0(VALU_DEP_4)
	v_fma_f64 v[45:46], v[49:50], v[59:60], v[49:50]
	v_add_f64_e32 v[49:50], v[33:34], v[10:11]
	v_fma_f64 v[51:52], v[51:52], v[59:60], v[51:52]
	v_add_f64_e64 v[24:25], v[47:48], -v[24:25]
	v_add_f64_e32 v[20:21], v[20:21], v[37:38]
	v_add_f64_e32 v[39:40], v[41:42], v[39:40]
	v_fma_f64 v[55:56], -v[45:46], v[45:46], v[31:32]
	v_add_f64_e64 v[41:42], v[49:50], -v[33:34]
	v_add_f64_e64 v[12:13], v[12:13], -v[24:25]
	s_delay_alu instid0(VALU_DEP_4) | instskip(NEXT) | instid1(VALU_DEP_4)
	v_add_f64_e32 v[37:38], v[49:50], v[39:40]
	v_fma_f64 v[43:44], v[55:56], v[51:52], v[45:46]
	s_delay_alu instid0(VALU_DEP_4) | instskip(NEXT) | instid1(VALU_DEP_4)
	v_add_f64_e64 v[24:25], v[49:50], -v[41:42]
	v_add_f64_e32 v[12:13], v[20:21], v[12:13]
	v_add_f64_e64 v[20:21], v[10:11], -v[41:42]
	v_cndmask_b32_e64 v41, 0, 0xffffff80, vcc_lo
	v_cmp_class_f64_e64 vcc_lo, v[31:32], 0x260
	v_add_f64_e32 v[45:46], v[35:36], v[37:38]
	v_fma_f64 v[39:40], -v[43:44], v[43:44], v[31:32]
	v_add_f64_e64 v[24:25], v[33:34], -v[24:25]
	v_add_f64_e32 v[10:11], v[47:48], v[12:13]
	s_delay_alu instid0(VALU_DEP_4) | instskip(NEXT) | instid1(VALU_DEP_4)
	v_add_f64_e64 v[35:36], v[45:46], -v[35:36]
	v_fma_f64 v[33:34], v[39:40], v[51:52], v[43:44]
	s_delay_alu instid0(VALU_DEP_4) | instskip(SKIP_2) | instid1(VALU_DEP_4)
	v_add_f64_e32 v[20:21], v[20:21], v[24:25]
	v_cndmask_b32_e64 v39, 0xaa64c2f8, 0, s2
	v_mov_b32_e32 v43, 0
	v_ldexp_f64 v[24:25], v[33:34], v41
	v_add_f64_e64 v[33:34], v[37:38], -v[35:36]
	v_add_f64_e64 v[35:36], v[10:11], -v[47:48]
	s_wait_alu 0xfffd
	s_delay_alu instid0(VALU_DEP_3)
	v_cndmask_b32_e32 v25, v25, v32, vcc_lo
	v_cndmask_b32_e64 v40, 0xbfe45460, v26, s2
	v_cndmask_b32_e32 v24, v24, v31, vcc_lo
	v_add_f64_e32 v[31:32], v[20:21], v[33:34]
	v_add_f64_e64 v[12:13], v[12:13], -v[35:36]
	v_cmp_eq_f64_e32 vcc_lo, 1.0, v[14:15]
	v_mul_f64_e32 v[37:38], v[39:40], v[10:11]
	v_add_f64_e32 v[20:21], 1.0, v[24:25]
	v_cndmask_b32_e64 v44, 0xbff80000, v26, s2
	s_delay_alu instid0(VALU_DEP_1)
	v_mul_f64_e32 v[55:56], v[43:44], v[10:11]
	v_add_f64_e32 v[24:25], v[45:46], v[31:32]
	s_wait_alu 0xfffd
	v_cndmask_b32_e32 v42, 0xbfc99999, v26, vcc_lo
	v_fma_f64 v[33:34], v[39:40], v[10:11], -v[37:38]
	v_div_scale_f64 v[35:36], null, v[20:21], v[20:21], 1.0
	v_cndmask_b32_e64 v41, 0x9999999a, 0, vcc_lo
	v_cmp_class_f64_e64 vcc_lo, v[37:38], 0x204
	v_div_fixup_f64 v[26:27], v[27:28], v[4:5], 0xc0f6f300
	v_div_fixup_f64 v[28:29], v[29:30], v[4:5], s[42:43]
	v_fma_f64 v[61:62], v[43:44], v[10:11], -v[55:56]
	v_cmp_class_f64_e64 s3, v[55:56], 0x204
	v_add_f64_e64 v[45:46], v[24:25], -v[45:46]
	v_mul_f64_e32 v[47:48], v[41:42], v[24:25]
	v_fma_f64 v[33:34], v[39:40], v[12:13], v[33:34]
	v_rcp_f64_e32 v[51:52], v[35:36]
	s_delay_alu instid0(VALU_DEP_3) | instskip(NEXT) | instid1(VALU_DEP_3)
	v_add_f64_e64 v[31:32], v[31:32], -v[45:46]
	v_fma_f64 v[24:25], v[41:42], v[24:25], -v[47:48]
	s_wait_alu 0xfffe
	v_div_scale_f64 v[45:46], null, v[4:5], v[4:5], s[6:7]
	s_delay_alu instid0(VALU_DEP_4) | instskip(NEXT) | instid1(TRANS32_DEP_1)
	v_add_f64_e32 v[49:50], v[37:38], v[33:34]
	v_fma_f64 v[59:60], -v[35:36], v[51:52], 1.0
	s_delay_alu instid0(VALU_DEP_4) | instskip(NEXT) | instid1(VALU_DEP_4)
	v_fma_f64 v[24:25], v[41:42], v[31:32], v[24:25]
	v_rcp_f64_e32 v[31:32], v[45:46]
	s_wait_alu 0xfffd
	s_delay_alu instid0(VALU_DEP_3) | instskip(NEXT) | instid1(VALU_DEP_3)
	v_dual_cndmask_b32 v58, v50, v38 :: v_dual_cndmask_b32 v57, v49, v37
	v_fma_f64 v[51:52], v[51:52], v[59:60], v[51:52]
	v_fma_f64 v[59:60], v[43:44], v[12:13], v[61:62]
	v_cmp_class_f64_e64 vcc_lo, v[47:48], 0x204
	v_add_f64_e64 v[37:38], v[49:50], -v[37:38]
	v_mul_f64_e32 v[63:64], s[36:37], v[57:58]
	v_mul_f64_e32 v[49:50], s[36:37], v[28:29]
	v_add_f64_e32 v[67:68], v[47:48], v[24:25]
	s_delay_alu instid0(TRANS32_DEP_1)
	v_fma_f64 v[71:72], -v[45:46], v[31:32], 1.0
	v_fma_f64 v[69:70], -v[35:36], v[51:52], 1.0
	v_add_f64_e32 v[73:74], v[55:56], v[59:60]
	v_rndne_f64_e32 v[61:62], v[63:64]
	v_rcp_f64_e32 v[63:64], v[65:66]
	s_wait_alu 0xfffd
	v_dual_cndmask_b32 v80, v68, v48 :: v_dual_cndmask_b32 v79, v67, v47
	v_div_scale_f64 v[81:82], vcc_lo, 1.0, v[20:21], 1.0
	v_fma_f64 v[31:32], v[31:32], v[71:72], v[31:32]
	v_fma_f64 v[51:52], v[51:52], v[69:70], v[51:52]
	s_delay_alu instid0(VALU_DEP_4)
	v_mul_f64_e32 v[69:70], s[36:37], v[79:80]
	s_wait_alu 0xf1ff
	v_cndmask_b32_e64 v72, v74, v56, s3
	v_cndmask_b32_e64 v71, v73, v55, s3
	v_fma_f64 v[75:76], v[61:62], s[24:25], v[57:58]
	v_div_scale_f64 v[91:92], s3, s[6:7], v[4:5], s[6:7]
	s_delay_alu instid0(TRANS32_DEP_1)
	v_fma_f64 v[77:78], -v[65:66], v[63:64], 1.0
	v_cvt_i32_f64_e32 v53, v[61:62]
	v_add_f64_e64 v[55:56], v[73:74], -v[55:56]
	v_add_f64_e64 v[47:48], v[67:68], -v[47:48]
	v_fma_f64 v[85:86], -v[45:46], v[31:32], 1.0
	v_mul_f64_e32 v[83:84], v[81:82], v[51:52]
	v_rndne_f64_e32 v[69:70], v[69:70]
	v_fma_f64 v[75:76], v[61:62], s[16:17], v[75:76]
	v_fma_f64 v[63:64], v[63:64], v[77:78], v[63:64]
	v_mul_f64_e32 v[77:78], s[36:37], v[71:72]
	v_add_f64_e64 v[55:56], v[59:60], -v[55:56]
	v_add_f64_e64 v[24:25], v[24:25], -v[47:48]
	v_trunc_f64_e32 v[47:48], v[39:40]
	v_trunc_f64_e32 v[59:60], v[43:44]
	v_fma_f64 v[31:32], v[31:32], v[85:86], v[31:32]
	v_fma_f64 v[35:36], -v[35:36], v[83:84], v[81:82]
	v_fma_f64 v[81:82], v[69:70], s[24:25], v[79:80]
	v_fma_f64 v[87:88], v[75:76], s[12:13], s[8:9]
	v_fma_f64 v[89:90], -v[65:66], v[63:64], 1.0
	v_rndne_f64_e32 v[77:78], v[77:78]
	s_wait_alu 0xfffd
	v_div_fmas_f64 v[35:36], v[35:36], v[51:52], v[83:84]
	v_mul_f64_e32 v[51:52], v[91:92], v[31:32]
	v_fma_f64 v[81:82], v[69:70], s[16:17], v[81:82]
	s_mov_b32 vcc_lo, s3
	v_fma_f64 v[85:86], v[75:76], v[87:88], s[18:19]
	v_div_scale_f64 v[87:88], s4, 0xc12345b6, v[4:5], 0xc12345b6
	v_fma_f64 v[63:64], v[63:64], v[89:90], v[63:64]
	v_fma_f64 v[89:90], v[77:78], s[24:25], v[71:72]
	v_cmp_neq_f64_e64 s3, 0x7ff00000, |v[57:58]|
	v_div_fixup_f64 v[20:21], v[35:36], v[20:21], 1.0
	v_fma_f64 v[45:46], -v[45:46], v[51:52], v[91:92]
	v_fma_f64 v[91:92], v[81:82], s[12:13], s[8:9]
	v_fma_f64 v[83:84], v[75:76], v[85:86], s[22:23]
	v_mul_f64_e32 v[85:86], v[87:88], v[63:64]
	v_fma_f64 v[89:90], v[77:78], s[16:17], v[89:90]
	s_wait_alu 0xfffe
	v_div_fmas_f64 v[31:32], v[45:46], v[31:32], v[51:52]
	v_fma_f64 v[91:92], v[81:82], v[91:92], s[18:19]
	v_mul_f64_e32 v[45:46], 0.5, v[39:40]
	v_fma_f64 v[83:84], v[75:76], v[83:84], s[26:27]
	s_mov_b32 vcc_lo, s4
	v_cmp_ngt_f64_e64 s4, 0xc090cc00, v[57:58]
	v_fma_f64 v[65:66], -v[65:66], v[85:86], v[87:88]
	v_fma_f64 v[87:88], v[89:90], s[12:13], s[8:9]
	v_div_fixup_f64 v[30:31], v[31:32], v[4:5], s[6:7]
	v_fma_f64 v[91:92], v[81:82], v[91:92], s[22:23]
	v_add_f64_e64 v[32:33], v[33:34], -v[37:38]
	v_fma_f64 v[83:84], v[75:76], v[83:84], s[30:31]
	v_rndne_f64_e32 v[37:38], v[49:50]
	v_cmp_ngt_f64_e64 s7, 0xc090cc00, v[79:80]
	s_wait_alu 0xfffe
	v_div_fmas_f64 v[63:64], v[65:66], v[63:64], v[85:86]
	v_fma_f64 v[87:88], v[89:90], v[87:88], s[18:19]
	v_trunc_f64_e32 v[65:66], v[45:46]
	v_mul_f64_e32 v[85:86], 0.5, v[41:42]
	v_fma_f64 v[91:92], v[81:82], v[91:92], s[26:27]
	v_cndmask_b32_e64 v33, 0, v33, s3
	v_fma_f64 v[83:84], v[75:76], v[83:84], s[34:35]
	v_cndmask_b32_e64 v32, 0, v32, s3
	v_cmp_nlt_f64_e64 s3, 0x40900000, v[57:58]
	v_div_fixup_f64 v[63:64], v[63:64], v[4:5], 0xc12345b6
	v_fma_f64 v[87:88], v[89:90], v[87:88], s[22:23]
	v_cmp_neq_f64_e32 vcc_lo, v[65:66], v[45:46]
	v_trunc_f64_e32 v[65:66], v[85:86]
	v_fma_f64 v[91:92], v[81:82], v[91:92], s[30:31]
	v_fma_f64 v[83:84], v[75:76], v[83:84], s[28:29]
	;; [unrolled: 1-line block ×3, first 2 shown]
	s_delay_alu instid0(VALU_DEP_4) | instskip(SKIP_1) | instid1(VALU_DEP_4)
	v_cmp_neq_f64_e64 s5, v[65:66], v[85:86]
	v_trunc_f64_e32 v[65:66], v[41:42]
	v_fma_f64 v[83:84], v[75:76], v[83:84], s[10:11]
	s_delay_alu instid0(VALU_DEP_4)
	v_fma_f64 v[51:52], v[89:90], v[87:88], s[30:31]
	v_fma_f64 v[87:88], v[81:82], v[91:92], s[34:35]
	v_mul_f64_e32 v[91:92], s[36:37], v[26:27]
	v_cmp_eq_f64_e64 s6, v[65:66], v[41:42]
	v_fma_f64 v[65:66], v[37:38], s[24:25], v[28:29]
	v_fma_f64 v[83:84], v[75:76], v[83:84], s[14:15]
	;; [unrolled: 1-line block ×4, first 2 shown]
	v_rndne_f64_e32 v[91:92], v[91:92]
	v_fma_f64 v[65:66], v[37:38], s[16:17], v[65:66]
	v_fma_f64 v[83:84], v[75:76], v[83:84], 1.0
	v_fma_f64 v[45:46], v[89:90], v[51:52], s[28:29]
	v_mul_f64_e32 v[51:52], s[36:37], v[22:23]
	v_fma_f64 v[87:88], v[81:82], v[87:88], s[10:11]
	v_fma_f64 v[85:86], v[91:92], s[24:25], v[26:27]
	v_fma_f64 v[61:62], v[75:76], v[83:84], 1.0
	v_mul_f64_e32 v[75:76], s[36:37], v[30:31]
	v_mul_f64_e32 v[83:84], s[36:37], v[63:64]
	v_fma_f64 v[45:46], v[89:90], v[45:46], s[10:11]
	v_rndne_f64_e32 v[51:52], v[51:52]
	v_fma_f64 v[49:50], v[81:82], v[87:88], s[14:15]
	v_fma_f64 v[73:74], v[91:92], s[16:17], v[85:86]
	v_ldexp_f64 v[61:62], v[61:62], v53
	v_rndne_f64_e32 v[75:76], v[75:76]
	v_rndne_f64_e32 v[83:84], v[83:84]
	v_cvt_i32_f64_e32 v53, v[69:70]
	v_fma_f64 v[45:46], v[89:90], v[45:46], s[14:15]
	v_fma_f64 v[87:88], v[51:52], s[24:25], v[22:23]
	v_fma_f64 v[49:50], v[81:82], v[49:50], 1.0
	s_wait_alu 0xf1ff
	v_cndmask_b32_e64 v34, 0x7ff00000, v62, s3
	v_fma_f64 v[85:86], v[75:76], s[24:25], v[30:31]
	v_fma_f64 v[57:58], v[83:84], s[24:25], v[63:64]
	s_and_b32 s3, s4, s3
	v_fma_f64 v[45:46], v[89:90], v[45:46], 1.0
	v_fma_f64 v[87:88], v[51:52], s[16:17], v[87:88]
	v_fma_f64 v[49:50], v[81:82], v[49:50], 1.0
	v_fma_f64 v[81:82], v[73:74], s[12:13], s[8:9]
	v_cndmask_b32_e64 v62, 0, v34, s4
	v_cvt_i32_f64_e32 v34, v[77:78]
	s_wait_alu 0xfffe
	v_cndmask_b32_e64 v61, 0, v61, s3
	v_cmp_neq_f64_e64 s3, 0x7ff00000, |v[79:80]|
	v_cmp_nlt_f64_e64 s4, 0x40900000, v[79:80]
	v_cvt_i32_f64_e32 v51, v[51:52]
	s_mov_b32 s24, 0x895acc60
	v_fma_f64 v[32:33], v[61:62], v[32:33], v[61:62]
	s_mov_b32 s25, 0x3d98fb1c
	v_fma_f64 v[85:86], v[75:76], s[16:17], v[85:86]
	v_fma_f64 v[57:58], v[83:84], s[16:17], v[57:58]
	s_and_b32 s16, s6, s5
	v_fma_f64 v[45:46], v[89:90], v[45:46], 1.0
	v_fma_f64 v[69:70], v[87:88], s[12:13], s[8:9]
	v_fma_f64 v[89:90], v[65:66], s[12:13], s[8:9]
	v_fma_f64 v[81:82], v[73:74], v[81:82], s[18:19]
	v_ldexp_f64 v[49:50], v[49:50], v53
	v_cmp_ngt_f64_e64 s17, 0xc090cc00, v[26:27]
	v_cndmask_b32_e64 v25, 0, v25, s3
	v_cndmask_b32_e64 v24, 0, v24, s3
	s_and_b32 s3, s7, s4
	v_fma_f64 v[67:68], v[85:86], s[12:13], s[8:9]
	v_fma_f64 v[77:78], v[57:58], s[12:13], s[8:9]
	v_cmp_eq_f64_e64 s9, v[47:48], v[39:40]
	v_mul_f64_e32 v[47:48], 0.5, v[43:44]
	v_fma_f64 v[69:70], v[87:88], v[69:70], s[18:19]
	v_fma_f64 v[89:90], v[65:66], v[89:90], s[18:19]
	;; [unrolled: 1-line block ×3, first 2 shown]
	v_cmp_class_f64_e64 s8, v[61:62], 0x204
	v_cmp_ngt_f64_e64 s12, 0xc090cc00, v[71:72]
	v_ldexp_f64 v[45:46], v[45:46], v34
	v_cndmask_b32_e64 v34, 0x7ff00000, v50, s4
	s_wait_alu 0xfffe
	v_cndmask_b32_e64 v49, 0, v49, s3
	v_cmp_eq_f64_e64 s4, 0, v[4:5]
	v_cmp_gt_f64_e64 s3, 0, v[4:5]
	v_cndmask_b32_e64 v50, 0, v34, s7
	v_cmp_class_f64_e64 s7, v[4:5], 0x204
	s_delay_alu instid0(VALU_DEP_2)
	v_fma_f64 v[24:25], v[49:50], v[24:25], v[49:50]
	v_cmp_class_f64_e64 s13, v[49:50], 0x204
	v_fma_f64 v[67:68], v[85:86], v[67:68], s[18:19]
	v_fma_f64 v[77:78], v[57:58], v[77:78], s[18:19]
	s_and_b32 vcc_lo, s9, vcc_lo
	s_mov_b32 s18, 0xe361ce4c
	v_fma_f64 v[69:70], v[87:88], v[69:70], s[22:23]
	v_fma_f64 v[89:90], v[65:66], v[89:90], s[22:23]
	;; [unrolled: 1-line block ×3, first 2 shown]
	v_cndmask_b32_e64 v53, v32, v61, s8
	v_cndmask_b32_e64 v32, v33, v62, s8
	v_cmp_gt_f64_e64 s8, 0, v[39:40]
	s_wait_alu 0xfffe
	v_cndmask_b32_e32 v33, 0x3ff00000, v5, vcc_lo
	s_mov_b32 s19, 0x3de49da7
	v_cndmask_b32_e64 v34, 0, v53, s9
	s_delay_alu instid0(VALU_DEP_2) | instskip(NEXT) | instid1(VALU_DEP_2)
	v_bfi_b32 v61, 0x7fffffff, v32, v33
	v_cndmask_b32_e64 v34, v53, v34, s3
	v_cvt_i32_f64_e32 v53, v[75:76]
	s_delay_alu instid0(VALU_DEP_3)
	v_cndmask_b32_e64 v62, 0x7ff80000, v61, s9
	v_cmp_eq_f64_e64 s9, v[59:60], v[43:44]
	v_cndmask_b32_e64 v49, v24, v49, s13
	v_cndmask_b32_e64 v50, v25, v50, s13
	v_cmp_gt_f64_e64 s13, 0, v[14:15]
	v_fma_f64 v[67:68], v[85:86], v[67:68], s[22:23]
	v_fma_f64 v[77:78], v[57:58], v[77:78], s[22:23]
	s_mov_b32 s22, 0xbcf44c2d
	s_mov_b32 s23, 0x3dba2b1a
	v_fma_f64 v[69:70], v[87:88], v[69:70], s[26:27]
	v_fma_f64 v[89:90], v[65:66], v[89:90], s[26:27]
	;; [unrolled: 1-line block ×25, first 2 shown]
	v_cmp_neq_f64_e64 s10, 0x7ff00000, |v[71:72]|
	v_cmp_nlt_f64_e64 s11, 0x40900000, v[71:72]
	v_fma_f64 v[69:70], v[87:88], v[69:70], s[14:15]
	v_trunc_f64_e32 v[71:72], v[47:48]
	v_fma_f64 v[79:80], v[65:66], v[79:80], s[14:15]
	v_fma_f64 v[81:82], v[73:74], v[81:82], 1.0
	v_fma_f64 v[67:68], v[85:86], v[67:68], s[14:15]
	v_fma_f64 v[77:78], v[57:58], v[77:78], s[14:15]
	s_wait_alu 0xf1ff
	v_cndmask_b32_e64 v33, 0, v56, s10
	v_cndmask_b32_e64 v46, 0x7ff00000, v46, s11
	v_fma_f64 v[69:70], v[87:88], v[69:70], 1.0
	v_cmp_neq_f64_e64 s14, v[71:72], v[47:48]
	v_fma_f64 v[39:40], v[65:66], v[79:80], 1.0
	v_cvt_i32_f64_e32 v72, v[91:92]
	v_fma_f64 v[47:48], v[73:74], v[81:82], 1.0
	s_and_b32 s5, s12, s11
	v_cndmask_b32_e64 v32, 0, v55, s10
	v_cndmask_b32_e64 v46, 0, v46, s12
	s_wait_alu 0xfffe
	v_cndmask_b32_e64 v45, 0, v45, s5
	v_cmp_eq_f64_e64 s15, 0, v[14:15]
	v_cmp_gt_f64_e64 s10, 0, v[41:42]
	v_cndmask_b32_e64 v71, 0x3ff00000, v15, s16
	s_xor_b32 s5, s4, s8
	v_fma_f64 v[32:33], v[45:46], v[32:33], v[45:46]
	v_cmp_class_f64_e64 s11, v[45:46], 0x204
	s_wait_alu 0xfffe
	v_cndmask_b32_e64 v41, 0x7ff00000, 0, s5
	v_cndmask_b32_e32 v42, 0, v5, vcc_lo
	v_bfi_b32 v50, 0x7fffffff, v50, v71
	v_cmp_gt_f64_e64 s12, 0, v[43:44]
	v_cmp_class_f64_e64 s8, v[14:15], 0x204
	v_cndmask_b32_e64 v43, v61, v62, s3
	v_bfi_b32 v44, 0x7fffffff, v41, v42
	v_cndmask_b32_e64 v52, 0x7ff80000, v50, s6
	v_div_fixup_f64 v[41:42], v[8:9], v[2:3], 1.0
	v_cmp_u_f64_e64 s5, v[4:5], v[4:5]
	v_fma_f64 v[55:56], v[85:86], v[67:68], 1.0
	v_fma_f64 v[59:60], v[57:58], v[77:78], 1.0
	v_cndmask_b32_e64 v67, 0, v49, s6
	s_or_b32 s6, s4, s7
	v_fma_f64 v[24:25], v[87:88], v[69:70], 1.0
	s_wait_alu 0xfffe
	v_cndmask_b32_e64 v8, v34, 0, s6
	v_cndmask_b32_e64 v9, v43, v44, s6
	v_cvt_i32_f64_e32 v34, v[37:38]
	v_fma_f64 v[37:38], v[65:66], v[39:40], 1.0
	s_and_b32 vcc_lo, s9, s14
	v_cmp_ngt_f64_e64 s14, 0xc090cc00, v[30:31]
	v_mul_f64_e32 v[39:40], s[18:19], v[8:9]
	v_ldexp_f64 v[8:9], v[47:48], v72
	s_mov_b32 s18, 0x5013f7f4
	s_xor_b32 s10, s15, s10
	s_mov_b32 s19, 0x3dd01492
	v_cndmask_b32_e64 v45, v32, v45, s11
	v_cndmask_b32_e64 v32, v33, v46, s11
	s_mov_b32 s11, 0x3dd716f9
	v_fma_f64 v[43:44], v[85:86], v[55:56], 1.0
	v_cvt_i32_f64_e32 v55, v[83:84]
	v_fma_f64 v[47:48], v[57:58], v[59:60], 1.0
	s_wait_alu 0xfffe
	v_cndmask_b32_e32 v56, 0x3ff00000, v5, vcc_lo
	v_ldexp_f64 v[24:25], v[24:25], v51
	v_cndmask_b32_e64 v51, 0x7ff00000, 0, s10
	v_cndmask_b32_e64 v57, 0, v15, s16
	s_xor_b32 s10, s4, s12
	v_bfi_b32 v46, 0x7fffffff, v32, v56
	v_cndmask_b32_e64 v32, v49, v67, s13
	v_cndmask_b32_e64 v49, v50, v52, s13
	v_bfi_b32 v33, 0x7fffffff, v51, v57
	s_wait_alu 0xfffe
	v_cndmask_b32_e64 v50, 0x7ff00000, 0, s10
	v_cndmask_b32_e32 v51, 0, v5, vcc_lo
	v_cndmask_b32_e64 v52, 0x7ff80000, v46, s9
	s_or_b32 vcc_lo, s15, s8
	s_mov_b32 s12, 0x77318fc5
	s_wait_alu 0xfffe
	v_cndmask_b32_e32 v49, v49, v33, vcc_lo
	v_cndmask_b32_e64 v56, v32, 0, vcc_lo
	v_cmp_o_f64_e32 vcc_lo, v[14:15], v[14:15]
	v_cndmask_b32_e64 v15, 0, v45, s9
	v_bfi_b32 v14, 0x7fffffff, v50, v51
	v_cndmask_b32_e64 v46, v46, v52, s3
	s_mov_b32 s8, 0x33333333
	s_mov_b32 s9, 0x3fd33333
	v_cndmask_b32_e64 v15, v45, v15, s3
	s_mov_b32 s10, 0x798c4336
	v_cndmask_b32_e64 v14, v46, v14, s6
	s_wait_alu 0xfffe
	v_fma_f64 v[45:46], v[8:9], s[8:9], 1.0
	s_or_b32 s8, s5, s6
	v_cmp_ngt_f64_e64 s9, 0xc090cc00, v[22:23]
	s_wait_alu 0xfffe
	v_cndmask_b32_e64 v8, v15, 0, s8
	v_cmp_nlt_f64_e64 s8, 0x40900000, v[22:23]
	v_cndmask_b32_e64 v9, v14, 0x7ff80000, s5
	s_mov_b32 s13, 0x3f5f212d
	v_mul_f64_e32 v[32:33], s[10:11], v[41:42]
	v_cmp_nlt_f64_e64 s15, 0x40900000, v[63:64]
	s_mov_b32 s11, 0x3df716f9
	v_ldexp_f64 v[43:44], v[43:44], v53
	s_wait_alu 0xfffe
	v_mul_f64_e32 v[22:23], s[12:13], v[8:9]
	v_ldexp_f64 v[47:48], v[47:48], v55
	v_cmp_nlt_f64_e64 s13, 0x40900000, v[30:31]
	v_ldexp_f64 v[37:38], v[37:38], v34
	v_cndmask_b32_e64 v34, v40, 0x7ff80000, s5
	v_mul_f64_e32 v[40:41], s[10:11], v[41:42]
	v_cmp_nlt_f64_e64 s10, 0x40900000, v[28:29]
	v_cmp_ngt_f64_e64 s11, 0xc090cc00, v[28:29]
	v_cmp_nlt_f64_e64 s12, 0x40900000, v[26:27]
	v_cmp_ngt_f64_e64 s16, 0xc090cc00, v[63:64]
	v_mul_f64_e32 v[28:29], s[18:19], v[2:3]
	v_mul_f64_e32 v[30:31], s[22:23], v[2:3]
	s_wait_alu 0xfffd
	v_cndmask_b32_e32 v14, 0, v56, vcc_lo
	v_cndmask_b32_e32 v15, 0x7ff80000, v49, vcc_lo
	v_cmp_o_f64_e32 vcc_lo, v[6:7], v[6:7]
	s_wait_alu 0xf1ff
	v_cndmask_b32_e64 v25, 0x7ff00000, v25, s8
	s_and_b32 s8, s9, s8
	s_wait_alu 0xfffe
	v_cndmask_b32_e64 v6, 0, v24, s8
	v_mul_f64_e32 v[32:33], v[32:33], v[14:15]
	v_cndmask_b32_e64 v7, 0, v25, s9
	s_mov_b32 s9, 0
	v_cndmask_b32_e64 v42, 0x7ff00000, v44, s13
	v_cndmask_b32_e64 v44, 0x7ff00000, v48, s15
	v_mul_f64_e32 v[48:49], s[24:25], v[2:3]
	v_mul_f64_e32 v[50:51], v[6:7], v[22:23]
	v_cndmask_b32_e64 v38, 0x7ff00000, v38, s10
	v_mul_f64_e32 v[40:41], v[40:41], v[14:15]
	v_cndmask_b32_e64 v25, 0x7ff00000, v46, s12
	v_cndmask_b32_e64 v23, 0, v44, s16
	s_delay_alu instid0(VALU_DEP_4)
	v_cndmask_b32_e64 v27, 0, v38, s11
	s_wait_alu 0xfffd
	v_cndmask_b32_e32 v19, 0x7ff80000, v17, vcc_lo
	v_cndmask_b32_e32 v18, 0, v16, vcc_lo
	s_and_b32 vcc_lo, s11, s10
	v_cndmask_b32_e64 v17, 0x3ff00000, v25, s17
	s_wait_alu 0xfffe
	v_cndmask_b32_e32 v26, 0, v37, vcc_lo
	s_and_b32 vcc_lo, s14, s13
	v_cndmask_b32_e64 v25, 0, v42, s14
	s_wait_alu 0xfffe
	v_cndmask_b32_e32 v24, 0, v43, vcc_lo
	s_and_b32 vcc_lo, s16, s15
	v_mul_f64_e32 v[28:29], v[28:29], v[26:27]
	s_wait_alu 0xfffe
	v_cndmask_b32_e32 v22, 0, v47, vcc_lo
	s_and_b32 vcc_lo, s17, s12
	v_mul_f64_e32 v[30:31], v[30:31], v[24:25]
	s_wait_alu 0xfffe
	v_cndmask_b32_e32 v16, 0, v45, vcc_lo
	s_cmp_lg_u32 s33, 0
	v_mul_f64_e32 v[52:53], v[32:33], v[18:19]
	v_cndmask_b32_e64 v33, v39, 0, s5
	s_cselect_b32 s18, -1, 0
	s_cmp_eq_u32 s33, 0
	v_mul_f64_e32 v[35:36], v[48:49], v[22:23]
	v_mul_f64_e32 v[50:51], v[16:17], v[50:51]
	v_mul_f64_e32 v[38:39], v[40:41], v[18:19]
	v_mul_f64_e32 v[42:43], v[20:21], v[30:31]
	v_mul_f64_e32 v[44:45], s[20:21], v[52:53]
	v_fma_f64 v[46:47], v[20:21], v[28:29], v[52:53]
	v_mul_f64_e32 v[48:49], v[20:21], v[35:36]
	v_add_f64_e32 v[50:51], v[33:34], v[50:51]
	s_cbranch_scc1 .LBB0_8
; %bb.2:
	s_mov_b32 s10, 0xd79435e
	s_mov_b32 s11, 0x3fb435e5
	v_mov_b32_e32 v31, s21
	s_wait_alu 0xfffe
	v_mul_f64_e64 v[40:41], s[20:21], s[10:11]
	v_dual_mov_b32 v55, 19 :: v_dual_mov_b32 v30, s20
	s_mov_b32 s10, 0x627a63c3
	s_mov_b32 s12, 0x76710975
	;; [unrolled: 1-line block ×8, first 2 shown]
.LBB0_3:                                ; =>This Inner Loop Header: Depth=1
	v_dual_mov_b32 v57, v31 :: v_dual_mov_b32 v56, v30
	v_sub_co_u32 v55, s19, v55, 1
	s_wait_alu 0xfffe
	s_delay_alu instid0(VALU_DEP_2) | instskip(SKIP_2) | instid1(VALU_DEP_3)
	v_div_scale_f64 v[28:29], null, v[56:57], v[56:57], s[10:11]
	v_div_scale_f64 v[34:35], vcc_lo, s[10:11], v[56:57], s[10:11]
	v_div_scale_f64 v[60:61], s8, s[12:13], v[56:57], s[12:13]
	v_rcp_f64_e32 v[30:31], v[28:29]
	s_delay_alu instid0(TRANS32_DEP_1) | instskip(NEXT) | instid1(VALU_DEP_1)
	v_fma_f64 v[32:33], -v[28:29], v[30:31], 1.0
	v_fma_f64 v[30:31], v[30:31], v[32:33], v[30:31]
	s_delay_alu instid0(VALU_DEP_1) | instskip(NEXT) | instid1(VALU_DEP_1)
	v_fma_f64 v[32:33], -v[28:29], v[30:31], 1.0
	v_fma_f64 v[30:31], v[30:31], v[32:33], v[30:31]
	s_delay_alu instid0(VALU_DEP_1) | instskip(NEXT) | instid1(VALU_DEP_1)
	v_mul_f64_e32 v[32:33], v[34:35], v[30:31]
	v_fma_f64 v[28:29], -v[28:29], v[32:33], v[34:35]
	s_wait_alu 0xfffd
	s_delay_alu instid0(VALU_DEP_1) | instskip(SKIP_1) | instid1(VALU_DEP_2)
	v_div_fmas_f64 v[28:29], v[28:29], v[30:31], v[32:33]
	v_div_scale_f64 v[32:33], null, v[56:57], v[56:57], s[12:13]
	v_div_fixup_f64 v[28:29], v[28:29], v[56:57], s[10:11]
	s_delay_alu instid0(VALU_DEP_2) | instskip(NEXT) | instid1(VALU_DEP_1)
	v_rcp_f64_e32 v[36:37], v[32:33]
	v_add_f64_e32 v[30:31], v[46:47], v[28:29]
	s_delay_alu instid0(TRANS32_DEP_1) | instskip(NEXT) | instid1(VALU_DEP_2)
	v_fma_f64 v[58:59], -v[32:33], v[36:37], 1.0
	v_div_scale_f64 v[28:29], null, v[30:31], v[30:31], v[44:45]
	v_div_scale_f64 v[62:63], vcc_lo, v[44:45], v[30:31], v[44:45]
	s_delay_alu instid0(VALU_DEP_3) | instskip(NEXT) | instid1(VALU_DEP_3)
	v_fma_f64 v[36:37], v[36:37], v[58:59], v[36:37]
	v_rcp_f64_e32 v[34:35], v[28:29]
	s_delay_alu instid0(VALU_DEP_1) | instskip(NEXT) | instid1(TRANS32_DEP_1)
	v_fma_f64 v[58:59], -v[32:33], v[36:37], 1.0
	v_fma_f64 v[52:53], -v[28:29], v[34:35], 1.0
	s_delay_alu instid0(VALU_DEP_2) | instskip(NEXT) | instid1(VALU_DEP_2)
	v_fma_f64 v[36:37], v[36:37], v[58:59], v[36:37]
	v_fma_f64 v[34:35], v[34:35], v[52:53], v[34:35]
	s_delay_alu instid0(VALU_DEP_2) | instskip(NEXT) | instid1(VALU_DEP_2)
	v_mul_f64_e32 v[58:59], v[60:61], v[36:37]
	v_fma_f64 v[52:53], -v[28:29], v[34:35], 1.0
	s_delay_alu instid0(VALU_DEP_2) | instskip(NEXT) | instid1(VALU_DEP_2)
	v_fma_f64 v[32:33], -v[32:33], v[58:59], v[60:61]
	v_fma_f64 v[34:35], v[34:35], v[52:53], v[34:35]
	s_delay_alu instid0(VALU_DEP_1) | instskip(NEXT) | instid1(VALU_DEP_1)
	v_mul_f64_e32 v[52:53], v[62:63], v[34:35]
	v_fma_f64 v[28:29], -v[28:29], v[52:53], v[62:63]
	s_wait_alu 0xfffd
	s_delay_alu instid0(VALU_DEP_1) | instskip(SKIP_4) | instid1(VALU_DEP_2)
	v_div_fmas_f64 v[34:35], v[28:29], v[34:35], v[52:53]
	s_mov_b32 vcc_lo, s8
	s_wait_alu 0xfffe
	v_div_fmas_f64 v[28:29], v[32:33], v[36:37], v[58:59]
	v_div_scale_f64 v[32:33], null, v[56:57], v[56:57], s[14:15]
	v_div_fixup_f64 v[28:29], v[28:29], v[56:57], s[12:13]
	s_delay_alu instid0(VALU_DEP_2) | instskip(NEXT) | instid1(VALU_DEP_1)
	v_rcp_f64_e32 v[58:59], v[32:33]
	v_add_f64_e32 v[52:53], v[42:43], v[28:29]
	s_delay_alu instid0(TRANS32_DEP_1) | instskip(NEXT) | instid1(VALU_DEP_2)
	v_fma_f64 v[62:63], -v[32:33], v[58:59], 1.0
	v_div_scale_f64 v[28:29], null, v[52:53], v[52:53], v[50:51]
	v_div_scale_f64 v[64:65], vcc_lo, v[50:51], v[52:53], v[50:51]
	s_delay_alu instid0(VALU_DEP_3) | instskip(NEXT) | instid1(VALU_DEP_3)
	v_fma_f64 v[58:59], v[58:59], v[62:63], v[58:59]
	v_rcp_f64_e32 v[36:37], v[28:29]
	s_delay_alu instid0(VALU_DEP_1) | instskip(NEXT) | instid1(TRANS32_DEP_1)
	v_fma_f64 v[62:63], -v[32:33], v[58:59], 1.0
	v_fma_f64 v[60:61], -v[28:29], v[36:37], 1.0
	s_delay_alu instid0(VALU_DEP_2) | instskip(NEXT) | instid1(VALU_DEP_2)
	v_fma_f64 v[58:59], v[58:59], v[62:63], v[58:59]
	v_fma_f64 v[36:37], v[36:37], v[60:61], v[36:37]
	s_delay_alu instid0(VALU_DEP_1) | instskip(NEXT) | instid1(VALU_DEP_1)
	v_fma_f64 v[60:61], -v[28:29], v[36:37], 1.0
	v_fma_f64 v[36:37], v[36:37], v[60:61], v[36:37]
	v_div_scale_f64 v[60:61], s8, s[14:15], v[56:57], s[14:15]
	s_delay_alu instid0(VALU_DEP_2) | instskip(NEXT) | instid1(VALU_DEP_2)
	v_mul_f64_e32 v[62:63], v[64:65], v[36:37]
	v_mul_f64_e32 v[66:67], v[60:61], v[58:59]
	s_delay_alu instid0(VALU_DEP_2) | instskip(NEXT) | instid1(VALU_DEP_2)
	v_fma_f64 v[28:29], -v[28:29], v[62:63], v[64:65]
	v_fma_f64 v[32:33], -v[32:33], v[66:67], v[60:61]
	s_wait_alu 0xfffd
	s_delay_alu instid0(VALU_DEP_2) | instskip(SKIP_2) | instid1(VALU_DEP_2)
	v_div_fmas_f64 v[28:29], v[28:29], v[36:37], v[62:63]
	s_mov_b32 vcc_lo, s8
	s_wait_alu 0xfffe
	v_div_fmas_f64 v[32:33], v[32:33], v[58:59], v[66:67]
	s_delay_alu instid0(VALU_DEP_2) | instskip(NEXT) | instid1(VALU_DEP_2)
	v_div_fixup_f64 v[28:29], v[28:29], v[52:53], v[50:51]
	v_div_fixup_f64 v[32:33], v[32:33], v[56:57], s[14:15]
	s_delay_alu instid0(VALU_DEP_2) | instskip(NEXT) | instid1(VALU_DEP_2)
	v_add_f64_e32 v[28:29], 1.0, v[28:29]
	v_add_f64_e32 v[32:33], v[48:49], v[32:33]
	s_delay_alu instid0(VALU_DEP_1) | instskip(SKIP_1) | instid1(VALU_DEP_2)
	v_div_scale_f64 v[36:37], null, v[38:39], v[38:39], v[32:33]
	v_div_scale_f64 v[62:63], vcc_lo, v[32:33], v[38:39], v[32:33]
	v_rcp_f64_e32 v[58:59], v[36:37]
	s_delay_alu instid0(TRANS32_DEP_1) | instskip(NEXT) | instid1(VALU_DEP_1)
	v_fma_f64 v[60:61], -v[36:37], v[58:59], 1.0
	v_fma_f64 v[58:59], v[58:59], v[60:61], v[58:59]
	s_delay_alu instid0(VALU_DEP_1) | instskip(NEXT) | instid1(VALU_DEP_1)
	v_fma_f64 v[60:61], -v[36:37], v[58:59], 1.0
	v_fma_f64 v[58:59], v[58:59], v[60:61], v[58:59]
	s_delay_alu instid0(VALU_DEP_1) | instskip(NEXT) | instid1(VALU_DEP_1)
	v_mul_f64_e32 v[60:61], v[62:63], v[58:59]
	v_fma_f64 v[36:37], -v[36:37], v[60:61], v[62:63]
	s_wait_alu 0xfffd
	s_delay_alu instid0(VALU_DEP_1) | instskip(NEXT) | instid1(VALU_DEP_1)
	v_div_fmas_f64 v[36:37], v[36:37], v[58:59], v[60:61]
	v_div_fixup_f64 v[36:37], v[36:37], v[38:39], v[32:33]
	s_delay_alu instid0(VALU_DEP_1) | instskip(NEXT) | instid1(VALU_DEP_1)
	v_add_f64_e32 v[28:29], v[36:37], v[28:29]
	v_div_scale_f64 v[36:37], null, v[28:29], v[28:29], v[40:41]
	v_div_scale_f64 v[62:63], vcc_lo, v[40:41], v[28:29], v[40:41]
	s_delay_alu instid0(VALU_DEP_2) | instskip(NEXT) | instid1(TRANS32_DEP_1)
	v_rcp_f64_e32 v[58:59], v[36:37]
	v_fma_f64 v[60:61], -v[36:37], v[58:59], 1.0
	s_delay_alu instid0(VALU_DEP_1) | instskip(NEXT) | instid1(VALU_DEP_1)
	v_fma_f64 v[58:59], v[58:59], v[60:61], v[58:59]
	v_fma_f64 v[60:61], -v[36:37], v[58:59], 1.0
	s_delay_alu instid0(VALU_DEP_1) | instskip(NEXT) | instid1(VALU_DEP_1)
	v_fma_f64 v[58:59], v[58:59], v[60:61], v[58:59]
	v_mul_f64_e32 v[60:61], v[62:63], v[58:59]
	s_delay_alu instid0(VALU_DEP_1) | instskip(SKIP_1) | instid1(VALU_DEP_1)
	v_fma_f64 v[36:37], -v[36:37], v[60:61], v[62:63]
	s_wait_alu 0xfffd
	v_div_fmas_f64 v[36:37], v[36:37], v[58:59], v[60:61]
	s_delay_alu instid0(VALU_DEP_1) | instskip(NEXT) | instid1(VALU_DEP_1)
	v_div_fixup_f64 v[28:29], v[36:37], v[28:29], v[40:41]
	v_mul_f64_e32 v[58:59], v[32:33], v[28:29]
	s_delay_alu instid0(VALU_DEP_1) | instskip(SKIP_1) | instid1(VALU_DEP_2)
	v_div_scale_f64 v[32:33], null, v[38:39], v[38:39], v[58:59]
	v_div_scale_f64 v[62:63], vcc_lo, v[58:59], v[38:39], v[58:59]
	v_rcp_f64_e32 v[36:37], v[32:33]
	s_delay_alu instid0(TRANS32_DEP_1) | instskip(NEXT) | instid1(VALU_DEP_1)
	v_fma_f64 v[60:61], -v[32:33], v[36:37], 1.0
	v_fma_f64 v[36:37], v[36:37], v[60:61], v[36:37]
	s_delay_alu instid0(VALU_DEP_1) | instskip(NEXT) | instid1(VALU_DEP_1)
	v_fma_f64 v[60:61], -v[32:33], v[36:37], 1.0
	v_fma_f64 v[60:61], v[36:37], v[60:61], v[36:37]
	v_div_fixup_f64 v[36:37], v[34:35], v[30:31], v[44:45]
	s_delay_alu instid0(VALU_DEP_2) | instskip(NEXT) | instid1(VALU_DEP_1)
	v_mul_f64_e32 v[64:65], v[62:63], v[60:61]
	v_fma_f64 v[30:31], -v[32:33], v[64:65], v[62:63]
	s_delay_alu instid0(VALU_DEP_3) | instskip(SKIP_1) | instid1(VALU_DEP_2)
	v_add_f64_e64 v[32:33], s[20:21], -v[36:37]
	s_wait_alu 0xfffd
	v_div_fmas_f64 v[30:31], v[30:31], v[60:61], v[64:65]
	s_delay_alu instid0(VALU_DEP_2) | instskip(NEXT) | instid1(VALU_DEP_2)
	v_add_f64_e32 v[60:61], v[32:33], v[28:29]
	v_div_fixup_f64 v[34:35], v[30:31], v[38:39], v[58:59]
	s_delay_alu instid0(VALU_DEP_1) | instskip(NEXT) | instid1(VALU_DEP_1)
	v_fma_f64 v[30:31], v[34:35], 2.0, v[60:61]
	v_add_f64_e64 v[56:57], v[56:57], -v[30:31]
	s_delay_alu instid0(VALU_DEP_1)
	v_cmp_lt_f64_e64 s8, |v[56:57]|, s[16:17]
	s_or_b32 s8, s8, s19
	s_wait_alu 0xfffe
	s_and_b32 s8, exec_lo, s8
	s_wait_alu 0xfffe
	s_or_b32 s9, s8, s9
	s_wait_alu 0xfffe
	s_and_not1_b32 exec_lo, exec_lo, s9
	s_cbranch_execnz .LBB0_3
; %bb.4:
	s_or_b32 exec_lo, exec_lo, s9
	v_mul_f64_e32 v[40:41], v[50:51], v[28:29]
	s_delay_alu instid0(VALU_DEP_1) | instskip(NEXT) | instid1(VALU_DEP_1)
	v_div_scale_f64 v[55:56], null, v[52:53], v[52:53], v[40:41]
	v_rcp_f64_e32 v[57:58], v[55:56]
	s_delay_alu instid0(TRANS32_DEP_1) | instskip(NEXT) | instid1(VALU_DEP_1)
	v_fma_f64 v[59:60], -v[55:56], v[57:58], 1.0
	v_fma_f64 v[57:58], v[57:58], v[59:60], v[57:58]
	s_delay_alu instid0(VALU_DEP_1) | instskip(NEXT) | instid1(VALU_DEP_1)
	v_fma_f64 v[59:60], -v[55:56], v[57:58], 1.0
	v_fma_f64 v[57:58], v[57:58], v[59:60], v[57:58]
	v_div_scale_f64 v[59:60], vcc_lo, v[40:41], v[52:53], v[40:41]
	s_delay_alu instid0(VALU_DEP_1) | instskip(NEXT) | instid1(VALU_DEP_1)
	v_mul_f64_e32 v[61:62], v[59:60], v[57:58]
	v_fma_f64 v[55:56], -v[55:56], v[61:62], v[59:60]
	s_wait_alu 0xfffd
	s_delay_alu instid0(VALU_DEP_1) | instskip(NEXT) | instid1(VALU_DEP_1)
	v_div_fmas_f64 v[55:56], v[55:56], v[57:58], v[61:62]
	v_div_fixup_f64 v[40:41], v[55:56], v[52:53], v[40:41]
	s_load_b64 s[8:9], s[0:1], 0x18
	s_branch .LBB0_6
.LBB0_5:
	s_delay_alu instid0(VALU_DEP_3) | instskip(NEXT) | instid1(VALU_DEP_2)
	v_div_scale_f64 v[28:29], null, v[46:47], v[46:47], v[44:45]
	v_div_scale_f64 v[30:31], null, v[42:43], v[42:43], v[50:51]
	s_delay_alu instid0(VALU_DEP_4) | instskip(SKIP_1) | instid1(VALU_DEP_4)
	v_div_scale_f64 v[32:33], null, v[38:39], v[38:39], v[48:49]
	v_div_scale_f64 v[59:60], vcc_lo, v[44:45], v[46:47], v[44:45]
	v_rcp_f64_e32 v[34:35], v[28:29]
	s_delay_alu instid0(VALU_DEP_3) | instskip(NEXT) | instid1(VALU_DEP_2)
	v_rcp_f64_e32 v[36:37], v[30:31]
	v_rcp_f64_e32 v[40:41], v[32:33]
	s_delay_alu instid0(TRANS32_DEP_3) | instskip(NEXT) | instid1(TRANS32_DEP_2)
	v_fma_f64 v[52:53], -v[28:29], v[34:35], 1.0
	v_fma_f64 v[55:56], -v[30:31], v[36:37], 1.0
	s_delay_alu instid0(TRANS32_DEP_1) | instskip(NEXT) | instid1(VALU_DEP_3)
	v_fma_f64 v[57:58], -v[32:33], v[40:41], 1.0
	v_fma_f64 v[34:35], v[34:35], v[52:53], v[34:35]
	s_delay_alu instid0(VALU_DEP_3) | instskip(NEXT) | instid1(VALU_DEP_3)
	v_fma_f64 v[36:37], v[36:37], v[55:56], v[36:37]
	v_fma_f64 v[40:41], v[40:41], v[57:58], v[40:41]
	s_delay_alu instid0(VALU_DEP_3) | instskip(NEXT) | instid1(VALU_DEP_3)
	v_fma_f64 v[52:53], -v[28:29], v[34:35], 1.0
	v_fma_f64 v[55:56], -v[30:31], v[36:37], 1.0
	s_delay_alu instid0(VALU_DEP_3) | instskip(NEXT) | instid1(VALU_DEP_3)
	v_fma_f64 v[57:58], -v[32:33], v[40:41], 1.0
	v_fma_f64 v[34:35], v[34:35], v[52:53], v[34:35]
	v_div_scale_f64 v[52:53], s0, v[50:51], v[42:43], v[50:51]
	s_delay_alu instid0(VALU_DEP_4) | instskip(NEXT) | instid1(VALU_DEP_4)
	v_fma_f64 v[36:37], v[36:37], v[55:56], v[36:37]
	v_fma_f64 v[40:41], v[40:41], v[57:58], v[40:41]
	v_div_scale_f64 v[55:56], s1, v[48:49], v[38:39], v[48:49]
	v_mul_f64_e32 v[57:58], v[59:60], v[34:35]
	s_delay_alu instid0(VALU_DEP_4) | instskip(NEXT) | instid1(VALU_DEP_3)
	v_mul_f64_e32 v[61:62], v[52:53], v[36:37]
	v_mul_f64_e32 v[63:64], v[55:56], v[40:41]
	s_delay_alu instid0(VALU_DEP_3) | instskip(NEXT) | instid1(VALU_DEP_3)
	v_fma_f64 v[28:29], -v[28:29], v[57:58], v[59:60]
	v_fma_f64 v[30:31], -v[30:31], v[61:62], v[52:53]
	s_delay_alu instid0(VALU_DEP_3) | instskip(SKIP_1) | instid1(VALU_DEP_3)
	v_fma_f64 v[32:33], -v[32:33], v[63:64], v[55:56]
	s_wait_alu 0xfffd
	v_div_fmas_f64 v[34:35], v[28:29], v[34:35], v[57:58]
	s_mov_b32 vcc_lo, s0
	s_wait_alu 0xfffe
	s_delay_alu instid0(VALU_DEP_3) | instskip(SKIP_3) | instid1(VALU_DEP_3)
	v_div_fmas_f64 v[28:29], v[30:31], v[36:37], v[61:62]
	s_mov_b32 vcc_lo, s1
	s_mov_b32 s0, 0xd79435e
	s_wait_alu 0xfffe
	v_div_fmas_f64 v[30:31], v[32:33], v[40:41], v[63:64]
	s_mov_b32 s1, 0x3fb435e5
	s_wait_alu 0xfffe
	v_mul_f64_e64 v[32:33], s[20:21], s[0:1]
	s_delay_alu instid0(VALU_DEP_3) | instskip(NEXT) | instid1(VALU_DEP_3)
	v_div_fixup_f64 v[28:29], v[28:29], v[42:43], v[50:51]
	v_div_fixup_f64 v[30:31], v[30:31], v[38:39], v[48:49]
	s_delay_alu instid0(VALU_DEP_2) | instskip(NEXT) | instid1(VALU_DEP_1)
	v_add_f64_e32 v[28:29], 1.0, v[28:29]
	v_add_f64_e32 v[28:29], v[30:31], v[28:29]
	s_delay_alu instid0(VALU_DEP_1) | instskip(SKIP_1) | instid1(VALU_DEP_2)
	v_div_scale_f64 v[30:31], null, v[28:29], v[28:29], v[32:33]
	v_div_scale_f64 v[52:53], vcc_lo, v[32:33], v[28:29], v[32:33]
	v_rcp_f64_e32 v[36:37], v[30:31]
	s_delay_alu instid0(TRANS32_DEP_1) | instskip(NEXT) | instid1(VALU_DEP_1)
	v_fma_f64 v[40:41], -v[30:31], v[36:37], 1.0
	v_fma_f64 v[36:37], v[36:37], v[40:41], v[36:37]
	s_delay_alu instid0(VALU_DEP_1) | instskip(NEXT) | instid1(VALU_DEP_1)
	v_fma_f64 v[40:41], -v[30:31], v[36:37], 1.0
	v_fma_f64 v[36:37], v[36:37], v[40:41], v[36:37]
	s_delay_alu instid0(VALU_DEP_1) | instskip(NEXT) | instid1(VALU_DEP_1)
	v_mul_f64_e32 v[40:41], v[52:53], v[36:37]
	v_fma_f64 v[30:31], -v[30:31], v[40:41], v[52:53]
	s_wait_alu 0xfffd
	s_delay_alu instid0(VALU_DEP_1) | instskip(NEXT) | instid1(VALU_DEP_1)
	v_div_fmas_f64 v[30:31], v[30:31], v[36:37], v[40:41]
	v_div_fixup_f64 v[28:29], v[30:31], v[28:29], v[32:33]
	s_delay_alu instid0(VALU_DEP_1) | instskip(SKIP_1) | instid1(VALU_DEP_2)
	v_mul_f64_e32 v[30:31], v[50:51], v[28:29]
	v_mul_f64_e32 v[40:41], v[48:49], v[28:29]
	v_div_scale_f64 v[32:33], null, v[42:43], v[42:43], v[30:31]
	s_delay_alu instid0(VALU_DEP_2) | instskip(SKIP_1) | instid1(VALU_DEP_3)
	v_div_scale_f64 v[36:37], null, v[38:39], v[38:39], v[40:41]
	v_div_scale_f64 v[57:58], vcc_lo, v[30:31], v[42:43], v[30:31]
	v_rcp_f64_e32 v[48:49], v[32:33]
	s_delay_alu instid0(VALU_DEP_2) | instskip(NEXT) | instid1(TRANS32_DEP_2)
	v_rcp_f64_e32 v[50:51], v[36:37]
	v_fma_f64 v[52:53], -v[32:33], v[48:49], 1.0
	s_delay_alu instid0(TRANS32_DEP_1) | instskip(NEXT) | instid1(VALU_DEP_2)
	v_fma_f64 v[55:56], -v[36:37], v[50:51], 1.0
	v_fma_f64 v[48:49], v[48:49], v[52:53], v[48:49]
	s_delay_alu instid0(VALU_DEP_2) | instskip(NEXT) | instid1(VALU_DEP_2)
	v_fma_f64 v[50:51], v[50:51], v[55:56], v[50:51]
	v_fma_f64 v[52:53], -v[32:33], v[48:49], 1.0
	s_delay_alu instid0(VALU_DEP_2) | instskip(NEXT) | instid1(VALU_DEP_2)
	v_fma_f64 v[55:56], -v[36:37], v[50:51], 1.0
	v_fma_f64 v[48:49], v[48:49], v[52:53], v[48:49]
	v_div_scale_f64 v[52:53], s0, v[40:41], v[38:39], v[40:41]
	s_delay_alu instid0(VALU_DEP_3) | instskip(NEXT) | instid1(VALU_DEP_3)
	v_fma_f64 v[50:51], v[50:51], v[55:56], v[50:51]
	v_mul_f64_e32 v[55:56], v[57:58], v[48:49]
	s_delay_alu instid0(VALU_DEP_2) | instskip(NEXT) | instid1(VALU_DEP_2)
	v_mul_f64_e32 v[59:60], v[52:53], v[50:51]
	v_fma_f64 v[32:33], -v[32:33], v[55:56], v[57:58]
	s_delay_alu instid0(VALU_DEP_2) | instskip(SKIP_2) | instid1(VALU_DEP_3)
	v_fma_f64 v[52:53], -v[36:37], v[59:60], v[52:53]
	v_div_fixup_f64 v[36:37], v[34:35], v[46:47], v[44:45]
	s_wait_alu 0xfffd
	v_div_fmas_f64 v[44:45], v[32:33], v[48:49], v[55:56]
	s_mov_b32 vcc_lo, s0
	s_wait_alu 0xfffe
	s_delay_alu instid0(VALU_DEP_3) | instskip(NEXT) | instid1(VALU_DEP_3)
	v_div_fmas_f64 v[34:35], v[52:53], v[50:51], v[59:60]
	v_add_f64_e64 v[32:33], s[20:21], -v[36:37]
	s_delay_alu instid0(VALU_DEP_2) | instskip(NEXT) | instid1(VALU_DEP_2)
	v_div_fixup_f64 v[34:35], v[34:35], v[38:39], v[40:41]
	v_add_f64_e32 v[38:39], v[32:33], v[28:29]
	v_div_fixup_f64 v[40:41], v[44:45], v[42:43], v[30:31]
	s_delay_alu instid0(VALU_DEP_2)
	v_fma_f64 v[30:31], v[34:35], 2.0, v[38:39]
.LBB0_6:
	s_and_not1_b32 vcc_lo, exec_lo, s18
	s_wait_alu 0xfffe
	s_cbranch_vccnz .LBB0_9
; %bb.7:
	s_mov_b32 s0, 0x36d36238
	s_mov_b32 s1, 0x3b07fb31
	s_wait_alu 0xfffe
	v_mul_f64_e32 v[38:39], s[0:1], v[36:37]
	s_mov_b32 s0, 0x3029af8
	s_mov_b32 s1, 0x3b20972b
	s_wait_alu 0xfffe
	s_delay_alu instid0(VALU_DEP_1) | instskip(SKIP_3) | instid1(VALU_DEP_1)
	v_fma_f64 v[38:39], v[40:41], s[0:1], v[38:39]
	s_mov_b32 s0, 0xafda58c5
	s_mov_b32 s1, 0x3ae80eae
	s_wait_alu 0xfffe
	v_fma_f64 v[38:39], v[28:29], s[0:1], v[38:39]
	s_branch .LBB0_10
.LBB0_8:
                                        ; implicit-def: $vgpr36_vgpr37
                                        ; implicit-def: $vgpr32_vgpr33
                                        ; implicit-def: $vgpr40_vgpr41
                                        ; implicit-def: $vgpr28_vgpr29
                                        ; implicit-def: $vgpr34_vgpr35
                                        ; implicit-def: $vgpr30_vgpr31
	s_load_b64 s[8:9], s[0:1], 0x18
	s_cbranch_execnz .LBB0_5
	s_branch .LBB0_6
.LBB0_9:
	v_mov_b32_e32 v38, 0
	v_mov_b32_e32 v39, 0
.LBB0_10:
	v_frexp_mant_f64_e32 v[42:43], v[4:5]
	s_mov_b32 s1, 0x3fe55555
	s_mov_b32 s0, 0x55555555
	;; [unrolled: 1-line block ×6, first 2 shown]
	v_mov_b32_e32 v80, 0x3ff00000
	v_cndmask_b32_e64 v62, 0xb020c49c, 0, s2
	s_mov_b32 s14, 0x652b82fe
	s_mov_b32 s15, 0x3ff71547
	;; [unrolled: 1-line block ×3, first 2 shown]
	v_cndmask_b32_e64 v63, 0xbfd96872, v80, s2
	s_mov_b32 s23, 0x3e5ade15
	s_mov_b32 s24, 0x623fde64
	s_mov_b32 s25, 0x3ec71dee
	s_mov_b32 s26, 0x7c89e6b0
	v_mul_f64_e32 v[64:65], v[62:63], v[10:11]
	s_mov_b32 s27, 0x3efa0199
	s_mov_b32 s28, 0x14761f6e
	;; [unrolled: 1-line block ×11, first 2 shown]
	s_wait_alu 0xfffe
	v_cmp_gt_f64_e32 vcc_lo, s[0:1], v[42:43]
	s_mov_b32 s0, 0x55555780
	s_wait_alu 0xfffd
	v_cndmask_b32_e64 v44, 0, 1, vcc_lo
	v_subrev_co_ci_u32_e64 v56, null, 0, v54, vcc_lo
	s_delay_alu instid0(VALU_DEP_2) | instskip(NEXT) | instid1(VALU_DEP_1)
	v_ldexp_f64 v[42:43], v[42:43], v44
	v_add_f64_e32 v[44:45], 1.0, v[42:43]
	v_add_f64_e32 v[50:51], -1.0, v[42:43]
	s_delay_alu instid0(VALU_DEP_2) | instskip(SKIP_1) | instid1(VALU_DEP_1)
	v_rcp_f64_e32 v[46:47], v[44:45]
	v_add_f64_e32 v[52:53], -1.0, v[44:45]
	v_add_f64_e64 v[42:43], v[42:43], -v[52:53]
	s_delay_alu instid0(TRANS32_DEP_1) | instskip(NEXT) | instid1(VALU_DEP_1)
	v_fma_f64 v[48:49], -v[44:45], v[46:47], 1.0
	v_fma_f64 v[46:47], v[48:49], v[46:47], v[46:47]
	s_delay_alu instid0(VALU_DEP_1) | instskip(NEXT) | instid1(VALU_DEP_1)
	v_fma_f64 v[48:49], -v[44:45], v[46:47], 1.0
	v_fma_f64 v[46:47], v[48:49], v[46:47], v[46:47]
	s_delay_alu instid0(VALU_DEP_1) | instskip(NEXT) | instid1(VALU_DEP_1)
	v_mul_f64_e32 v[48:49], v[50:51], v[46:47]
	v_mul_f64_e32 v[54:55], v[44:45], v[48:49]
	s_delay_alu instid0(VALU_DEP_1) | instskip(NEXT) | instid1(VALU_DEP_1)
	v_fma_f64 v[44:45], v[48:49], v[44:45], -v[54:55]
	v_fma_f64 v[42:43], v[48:49], v[42:43], v[44:45]
	s_delay_alu instid0(VALU_DEP_1) | instskip(NEXT) | instid1(VALU_DEP_1)
	v_add_f64_e32 v[44:45], v[54:55], v[42:43]
	v_add_f64_e64 v[52:53], v[50:51], -v[44:45]
	v_add_f64_e64 v[54:55], v[44:45], -v[54:55]
	s_delay_alu instid0(VALU_DEP_2) | instskip(NEXT) | instid1(VALU_DEP_2)
	v_add_f64_e64 v[50:51], v[50:51], -v[52:53]
	v_add_f64_e64 v[42:43], v[54:55], -v[42:43]
	s_delay_alu instid0(VALU_DEP_2) | instskip(NEXT) | instid1(VALU_DEP_1)
	v_add_f64_e64 v[44:45], v[50:51], -v[44:45]
	v_add_f64_e32 v[42:43], v[42:43], v[44:45]
	s_delay_alu instid0(VALU_DEP_1) | instskip(NEXT) | instid1(VALU_DEP_1)
	v_add_f64_e32 v[42:43], v[52:53], v[42:43]
	v_mul_f64_e32 v[42:43], v[46:47], v[42:43]
	s_delay_alu instid0(VALU_DEP_1) | instskip(NEXT) | instid1(VALU_DEP_1)
	v_add_f64_e32 v[44:45], v[48:49], v[42:43]
	v_mul_f64_e32 v[46:47], v[44:45], v[44:45]
	s_delay_alu instid0(VALU_DEP_1)
	v_fma_f64 v[50:51], v[46:47], s[12:13], s[10:11]
	s_mov_b32 s10, 0xd7f4df2e
	s_mov_b32 s11, 0x3fc7474d
	v_mul_f64_e32 v[52:53], v[44:45], v[46:47]
	s_mov_b32 s13, 0x3c7abc9e
	s_mov_b32 s12, 0x3b39803f
	s_wait_alu 0xfffe
	s_delay_alu instid0(VALU_DEP_2) | instskip(SKIP_3) | instid1(VALU_DEP_1)
	v_fma_f64 v[50:51], v[46:47], v[50:51], s[10:11]
	s_mov_b32 s10, 0x16291751
	s_mov_b32 s11, 0x3fcc71c0
	s_wait_alu 0xfffe
	v_fma_f64 v[50:51], v[46:47], v[50:51], s[10:11]
	s_mov_b32 s10, 0x9b27acf1
	s_mov_b32 s11, 0x3fd24924
	s_wait_alu 0xfffe
	s_delay_alu instid0(VALU_DEP_1) | instskip(SKIP_3) | instid1(VALU_DEP_1)
	v_fma_f64 v[50:51], v[46:47], v[50:51], s[10:11]
	s_mov_b32 s10, 0x998ef7b6
	s_mov_b32 s11, 0x3fd99999
	s_wait_alu 0xfffe
	v_fma_f64 v[50:51], v[46:47], v[50:51], s[10:11]
	s_mov_b32 s11, 0x3fe62e42
	s_mov_b32 s10, 0xfefa39ef
	s_delay_alu instid0(VALU_DEP_1) | instskip(SKIP_3) | instid1(VALU_DEP_3)
	v_fma_f64 v[46:47], v[46:47], v[50:51], s[0:1]
	v_ldexp_f64 v[50:51], v[44:45], 1
	v_add_f64_e64 v[44:45], v[44:45], -v[48:49]
	s_or_b32 s0, s4, s3
	v_mul_f64_e32 v[46:47], v[52:53], v[46:47]
	v_cvt_f64_i32_e32 v[52:53], v56
	s_delay_alu instid0(VALU_DEP_3) | instskip(NEXT) | instid1(VALU_DEP_3)
	v_add_f64_e64 v[42:43], v[42:43], -v[44:45]
	v_add_f64_e32 v[48:49], v[50:51], v[46:47]
	s_wait_alu 0xfffe
	s_delay_alu instid0(VALU_DEP_3) | instskip(NEXT) | instid1(VALU_DEP_3)
	v_mul_f64_e32 v[54:55], s[10:11], v[52:53]
	v_ldexp_f64 v[42:43], v[42:43], 1
	s_delay_alu instid0(VALU_DEP_3) | instskip(NEXT) | instid1(VALU_DEP_3)
	v_add_f64_e64 v[44:45], v[48:49], -v[50:51]
	v_fma_f64 v[50:51], v[52:53], s[10:11], -v[54:55]
	s_mov_b32 s11, 0xbfe62e42
	s_delay_alu instid0(VALU_DEP_2) | instskip(NEXT) | instid1(VALU_DEP_2)
	v_add_f64_e64 v[44:45], v[46:47], -v[44:45]
	v_fma_f64 v[46:47], v[52:53], s[12:13], v[50:51]
	s_mov_b32 s13, 0xbc7abc9e
	s_delay_alu instid0(VALU_DEP_2) | instskip(NEXT) | instid1(VALU_DEP_2)
	v_add_f64_e32 v[42:43], v[42:43], v[44:45]
	v_add_f64_e32 v[44:45], v[54:55], v[46:47]
	s_delay_alu instid0(VALU_DEP_2) | instskip(NEXT) | instid1(VALU_DEP_2)
	v_add_f64_e32 v[50:51], v[48:49], v[42:43]
	v_add_f64_e64 v[54:55], v[44:45], -v[54:55]
	s_delay_alu instid0(VALU_DEP_2) | instskip(SKIP_1) | instid1(VALU_DEP_3)
	v_add_f64_e32 v[52:53], v[44:45], v[50:51]
	v_add_f64_e64 v[48:49], v[50:51], -v[48:49]
	v_add_f64_e64 v[46:47], v[46:47], -v[54:55]
	s_delay_alu instid0(VALU_DEP_3) | instskip(NEXT) | instid1(VALU_DEP_3)
	v_add_f64_e64 v[56:57], v[52:53], -v[44:45]
	v_add_f64_e64 v[42:43], v[42:43], -v[48:49]
	s_delay_alu instid0(VALU_DEP_2) | instskip(SKIP_1) | instid1(VALU_DEP_3)
	v_add_f64_e64 v[58:59], v[52:53], -v[56:57]
	v_add_f64_e64 v[48:49], v[50:51], -v[56:57]
	v_add_f64_e32 v[50:51], v[46:47], v[42:43]
	s_delay_alu instid0(VALU_DEP_3) | instskip(NEXT) | instid1(VALU_DEP_1)
	v_add_f64_e64 v[44:45], v[44:45], -v[58:59]
	v_add_f64_e32 v[44:45], v[48:49], v[44:45]
	s_delay_alu instid0(VALU_DEP_3) | instskip(NEXT) | instid1(VALU_DEP_2)
	v_add_f64_e64 v[48:49], v[50:51], -v[46:47]
	v_add_f64_e32 v[44:45], v[50:51], v[44:45]
	s_delay_alu instid0(VALU_DEP_2) | instskip(SKIP_1) | instid1(VALU_DEP_3)
	v_add_f64_e64 v[50:51], v[50:51], -v[48:49]
	v_add_f64_e64 v[42:43], v[42:43], -v[48:49]
	v_add_f64_e32 v[54:55], v[52:53], v[44:45]
	s_delay_alu instid0(VALU_DEP_3) | instskip(NEXT) | instid1(VALU_DEP_2)
	v_add_f64_e64 v[46:47], v[46:47], -v[50:51]
	v_add_f64_e64 v[48:49], v[54:55], -v[52:53]
	s_delay_alu instid0(VALU_DEP_2) | instskip(SKIP_1) | instid1(VALU_DEP_3)
	v_add_f64_e32 v[42:43], v[42:43], v[46:47]
	v_div_scale_f64 v[46:47], null, v[4:5], v[4:5], 0xc11ce898
	v_add_f64_e64 v[44:45], v[44:45], -v[48:49]
	v_div_scale_f64 v[48:49], null, v[4:5], v[4:5], 0xc0fce4c0
	s_delay_alu instid0(VALU_DEP_3) | instskip(NEXT) | instid1(VALU_DEP_2)
	v_rcp_f64_e32 v[52:53], v[46:47]
	v_add_f64_e32 v[42:43], v[42:43], v[44:45]
	s_delay_alu instid0(TRANS32_DEP_1) | instskip(NEXT) | instid1(VALU_DEP_2)
	v_fma_f64 v[58:59], -v[46:47], v[52:53], 1.0
	v_add_f64_e32 v[42:43], v[54:55], v[42:43]
	s_delay_alu instid0(VALU_DEP_4) | instskip(NEXT) | instid1(VALU_DEP_2)
	v_rcp_f64_e32 v[54:55], v[48:49]
	v_fma_f64 v[52:53], v[52:53], v[58:59], v[52:53]
	s_delay_alu instid0(VALU_DEP_2) | instskip(NEXT) | instid1(VALU_DEP_3)
	v_cndmask_b32_e64 v43, v43, v5, s7
	v_cndmask_b32_e64 v42, v42, v4, s7
	v_cmp_class_f64_e64 s7, v[64:65], 0x204
	s_delay_alu instid0(TRANS32_DEP_1) | instskip(NEXT) | instid1(VALU_DEP_3)
	v_fma_f64 v[60:61], -v[48:49], v[54:55], 1.0
	v_add_f64_e64 v[42:43], 0x40160000, -v[42:43]
	s_delay_alu instid0(VALU_DEP_2) | instskip(SKIP_1) | instid1(VALU_DEP_3)
	v_fma_f64 v[54:55], v[54:55], v[60:61], v[54:55]
	v_fma_f64 v[60:61], -v[46:47], v[52:53], 1.0
	v_cndmask_b32_e64 v43, v43, 0x7ff80000, s3
	s_delay_alu instid0(VALU_DEP_4) | instskip(NEXT) | instid1(VALU_DEP_2)
	v_cndmask_b32_e64 v42, v42, 0, s0
	v_cndmask_b32_e64 v43, v43, 0x7ff00000, s4
	s_delay_alu instid0(VALU_DEP_1) | instskip(SKIP_3) | instid1(VALU_DEP_4)
	v_mul_f64_e32 v[42:43], v[42:43], v[42:43]
	v_fma_f64 v[66:67], -v[48:49], v[54:55], 1.0
	v_fma_f64 v[52:53], v[52:53], v[60:61], v[52:53]
	v_div_scale_f64 v[60:61], s1, 0xc0fce4c0, v[4:5], 0xc0fce4c0
	v_div_scale_f64 v[44:45], null, 0xc0080000, 0xc0080000, v[42:43]
	v_div_scale_f64 v[68:69], vcc_lo, v[42:43], 0xc0080000, v[42:43]
	v_fma_f64 v[54:55], v[54:55], v[66:67], v[54:55]
	s_delay_alu instid0(VALU_DEP_3) | instskip(NEXT) | instid1(VALU_DEP_1)
	v_rcp_f64_e32 v[50:51], v[44:45]
	v_mul_f64_e32 v[74:75], v[60:61], v[54:55]
	s_delay_alu instid0(TRANS32_DEP_1) | instskip(NEXT) | instid1(VALU_DEP_2)
	v_fma_f64 v[56:57], -v[44:45], v[50:51], 1.0
	v_fma_f64 v[48:49], -v[48:49], v[74:75], v[60:61]
	s_delay_alu instid0(VALU_DEP_2) | instskip(SKIP_1) | instid1(VALU_DEP_2)
	v_fma_f64 v[50:51], v[50:51], v[56:57], v[50:51]
	v_fma_f64 v[56:57], v[62:63], v[10:11], -v[64:65]
	v_fma_f64 v[58:59], -v[44:45], v[50:51], 1.0
	s_delay_alu instid0(VALU_DEP_2) | instskip(NEXT) | instid1(VALU_DEP_2)
	v_fma_f64 v[56:57], v[62:63], v[12:13], v[56:57]
	v_fma_f64 v[50:51], v[50:51], v[58:59], v[50:51]
	v_div_scale_f64 v[58:59], s0, 0xc11ce898, v[4:5], 0xc11ce898
	s_delay_alu instid0(VALU_DEP_3) | instskip(NEXT) | instid1(VALU_DEP_3)
	v_add_f64_e32 v[66:67], v[64:65], v[56:57]
	v_mul_f64_e32 v[70:71], v[68:69], v[50:51]
	s_delay_alu instid0(VALU_DEP_3) | instskip(SKIP_1) | instid1(VALU_DEP_3)
	v_mul_f64_e32 v[72:73], v[58:59], v[52:53]
	s_wait_alu 0xf1ff
	v_cndmask_b32_e64 v77, v67, v65, s7
	s_delay_alu instid0(VALU_DEP_4) | instskip(SKIP_1) | instid1(VALU_DEP_2)
	v_cndmask_b32_e64 v76, v66, v64, s7
	v_add_f64_e64 v[64:65], v[66:67], -v[64:65]
	v_mul_f64_e32 v[78:79], s[14:15], v[76:77]
	v_fma_f64 v[44:45], -v[44:45], v[70:71], v[68:69]
	v_fma_f64 v[46:47], -v[46:47], v[72:73], v[58:59]
	s_delay_alu instid0(VALU_DEP_4) | instskip(NEXT) | instid1(VALU_DEP_4)
	v_add_f64_e64 v[56:57], v[56:57], -v[64:65]
	v_rndne_f64_e32 v[58:59], v[78:79]
	s_wait_alu 0xfffd
	s_delay_alu instid0(VALU_DEP_4) | instskip(SKIP_2) | instid1(VALU_DEP_4)
	v_div_fmas_f64 v[44:45], v[44:45], v[50:51], v[70:71]
	s_mov_b32 vcc_lo, s0
	s_wait_alu 0xfffe
	v_div_fmas_f64 v[46:47], v[46:47], v[52:53], v[72:73]
	s_mov_b32 vcc_lo, s1
	v_cndmask_b32_e64 v52, 0xab367a10, 0, s2
	s_wait_alu 0xfffe
	v_div_fmas_f64 v[48:49], v[48:49], v[54:55], v[74:75]
	v_cndmask_b32_e64 v53, 0x3fd7573e, v80, s2
	s_mov_b32 s0, 0xfca7ab0c
	v_fma_f64 v[50:51], v[58:59], s[10:11], v[76:77]
	s_mov_b32 s1, 0x3e928af3
	v_cmp_gt_f64_e64 s2, 0, v[62:63]
	v_mul_f64_e32 v[54:55], v[52:53], v[10:11]
	v_div_fixup_f64 v[42:43], v[44:45], 0xc0080000, v[42:43]
	v_div_fixup_f64 v[46:47], v[46:47], v[4:5], 0xc11ce898
	;; [unrolled: 1-line block ×3, first 2 shown]
	v_cvt_i32_f64_e32 v4, v[58:59]
	v_fma_f64 v[50:51], v[58:59], s[12:13], v[50:51]
	v_fma_f64 v[10:11], v[52:53], v[10:11], -v[54:55]
	v_cmp_class_f64_e64 vcc_lo, v[54:55], 0x204
	v_mul_f64_e32 v[88:89], s[14:15], v[42:43]
	v_mul_f64_e32 v[70:71], s[14:15], v[46:47]
	;; [unrolled: 1-line block ×3, first 2 shown]
	s_wait_alu 0xfffe
	v_fma_f64 v[68:69], v[50:51], s[22:23], s[0:1]
	v_fma_f64 v[10:11], v[52:53], v[12:13], v[10:11]
	v_rndne_f64_e32 v[88:89], v[88:89]
	s_delay_alu instid0(VALU_DEP_4) | instskip(NEXT) | instid1(VALU_DEP_4)
	v_rndne_f64_e32 v[60:61], v[60:61]
	v_fma_f64 v[12:13], v[50:51], v[68:69], s[24:25]
	v_rndne_f64_e32 v[68:69], v[70:71]
	v_add_f64_e32 v[72:73], v[54:55], v[10:11]
	v_fma_f64 v[90:91], v[88:89], s[10:11], v[42:43]
	v_fma_f64 v[70:71], v[60:61], s[10:11], v[48:49]
	;; [unrolled: 1-line block ×4, first 2 shown]
	s_wait_alu 0xfffd
	v_dual_cndmask_b32 v79, v73, v55 :: v_dual_cndmask_b32 v78, v72, v54
	v_cmp_neq_f64_e64 vcc_lo, 0x7ff00000, |v[76:77]|
	v_add_f64_e64 v[54:55], v[72:73], -v[54:55]
	v_fma_f64 v[70:71], v[60:61], s[12:13], v[70:71]
	v_fma_f64 v[12:13], v[50:51], v[12:13], s[28:29]
	;; [unrolled: 1-line block ×3, first 2 shown]
	v_cvt_i32_f64_e32 v68, v[68:69]
	s_wait_alu 0xfffd
	v_cndmask_b32_e32 v57, 0, v57, vcc_lo
	v_mul_f64_e32 v[80:81], s[14:15], v[78:79]
	s_mov_b32 s14, 11
	s_mov_b32 s15, 0x3fe00000
	v_add_f64_e64 v[10:11], v[10:11], -v[54:55]
	v_cndmask_b32_e32 v56, 0, v56, vcc_lo
	v_fma_f64 v[82:83], v[70:71], s[22:23], s[0:1]
	v_fma_f64 v[12:13], v[50:51], v[12:13], s[30:31]
	;; [unrolled: 1-line block ×3, first 2 shown]
	v_rndne_f64_e32 v[80:81], v[80:81]
	s_delay_alu instid0(VALU_DEP_4) | instskip(NEXT) | instid1(VALU_DEP_4)
	v_fma_f64 v[82:83], v[70:71], v[82:83], s[24:25]
	v_fma_f64 v[12:13], v[50:51], v[12:13], s[20:21]
	s_delay_alu instid0(VALU_DEP_4) | instskip(NEXT) | instid1(VALU_DEP_4)
	v_fma_f64 v[84:85], v[74:75], v[84:85], s[24:25]
	v_fma_f64 v[86:87], v[80:81], s[10:11], v[78:79]
	s_mov_b32 s10, 0xbabb6581
	s_mov_b32 s11, 0x3c2bab8c
	s_delay_alu instid0(VALU_DEP_4) | instskip(NEXT) | instid1(VALU_DEP_4)
	v_fma_f64 v[82:83], v[70:71], v[82:83], s[26:27]
	v_fma_f64 v[12:13], v[50:51], v[12:13], s[18:19]
	s_delay_alu instid0(VALU_DEP_4) | instskip(NEXT) | instid1(VALU_DEP_4)
	v_fma_f64 v[44:45], v[74:75], v[84:85], s[26:27]
	v_fma_f64 v[86:87], v[80:81], s[12:13], v[86:87]
	;; [unrolled: 3-line block ×4, first 2 shown]
	s_delay_alu instid0(VALU_DEP_4) | instskip(SKIP_1) | instid1(VALU_DEP_4)
	v_fma_f64 v[82:83], v[70:71], v[82:83], s[30:31]
	s_wait_alu 0xfffe
	v_fma_f64 v[12:13], v[50:51], v[12:13], s[14:15]
	s_delay_alu instid0(VALU_DEP_4) | instskip(NEXT) | instid1(VALU_DEP_4)
	v_fma_f64 v[44:45], v[74:75], v[44:45], s[30:31]
	v_fma_f64 v[84:85], v[86:87], v[84:85], s[24:25]
	s_delay_alu instid0(VALU_DEP_4) | instskip(NEXT) | instid1(VALU_DEP_4)
	v_fma_f64 v[82:83], v[70:71], v[82:83], s[20:21]
	v_fma_f64 v[12:13], v[50:51], v[12:13], 1.0
	s_delay_alu instid0(VALU_DEP_4) | instskip(NEXT) | instid1(VALU_DEP_4)
	v_fma_f64 v[44:45], v[74:75], v[44:45], s[20:21]
	v_fma_f64 v[84:85], v[86:87], v[84:85], s[26:27]
	s_delay_alu instid0(VALU_DEP_4) | instskip(NEXT) | instid1(VALU_DEP_4)
	v_fma_f64 v[82:83], v[70:71], v[82:83], s[18:19]
	v_fma_f64 v[12:13], v[50:51], v[12:13], 1.0
	v_fma_f64 v[50:51], v[88:89], s[12:13], v[90:91]
	v_fma_f64 v[44:45], v[74:75], v[44:45], s[18:19]
	;; [unrolled: 1-line block ×4, first 2 shown]
	v_ldexp_f64 v[12:13], v[12:13], v4
	v_fma_f64 v[82:83], v[50:51], s[22:23], s[0:1]
	v_fma_f64 v[44:45], v[74:75], v[44:45], s[16:17]
	v_cmp_nlt_f64_e64 s0, 0x40900000, v[76:77]
	v_cmp_ngt_f64_e64 s1, 0xc090cc00, v[76:77]
	v_mul_f64_e32 v[76:77], 0.5, v[62:63]
	v_fma_f64 v[66:67], v[86:87], v[84:85], s[30:31]
	v_fma_f64 v[58:59], v[70:71], v[58:59], s[14:15]
	;; [unrolled: 1-line block ×3, first 2 shown]
	s_wait_alu 0xf1ff
	v_cndmask_b32_e64 v4, 0x7ff00000, v13, s0
	s_and_b32 vcc_lo, s1, s0
	s_delay_alu instid0(VALU_DEP_4) | instskip(SKIP_1) | instid1(VALU_DEP_3)
	v_fma_f64 v[64:65], v[86:87], v[66:67], s[20:21]
	v_fma_f64 v[66:67], v[50:51], v[82:83], s[24:25]
	v_cndmask_b32_e64 v13, 0, v4, s1
	v_cvt_i32_f64_e32 v4, v[60:61]
	v_trunc_f64_e32 v[60:61], v[76:77]
	s_wait_alu 0xfffe
	v_cndmask_b32_e32 v12, 0, v12, vcc_lo
	s_delay_alu instid0(VALU_DEP_1)
	v_fma_f64 v[56:57], v[12:13], v[56:57], v[12:13]
	v_cmp_class_f64_e64 s0, v[12:13], 0x204
	v_fma_f64 v[58:59], v[70:71], v[58:59], 1.0
	v_fma_f64 v[44:45], v[74:75], v[44:45], 1.0
	v_fma_f64 v[64:65], v[86:87], v[64:65], s[18:19]
	v_fma_f64 v[66:67], v[50:51], v[66:67], s[26:27]
	v_cmp_neq_f64_e32 vcc_lo, v[60:61], v[76:77]
	v_fma_f64 v[58:59], v[70:71], v[58:59], 1.0
	v_trunc_f64_e32 v[70:71], v[62:63]
	v_fma_f64 v[44:45], v[74:75], v[44:45], 1.0
	v_fma_f64 v[64:65], v[86:87], v[64:65], s[16:17]
	v_fma_f64 v[66:67], v[50:51], v[66:67], s[28:29]
	v_ldexp_f64 v[58:59], v[58:59], v4
	v_cmp_eq_f64_e64 s1, v[70:71], v[62:63]
	s_wait_alu 0xf1ff
	v_cndmask_b32_e64 v4, v56, v12, s0
	v_cndmask_b32_e64 v12, v57, v13, s0
	s_xor_b32 s0, s4, s2
	v_ldexp_f64 v[44:45], v[44:45], v68
	v_cmp_ngt_f64_e64 s2, 0xc090cc00, v[48:49]
	v_fma_f64 v[60:61], v[86:87], v[64:65], s[14:15]
	v_fma_f64 v[62:63], v[50:51], v[66:67], s[30:31]
	v_mul_f64_e32 v[58:59], s[10:11], v[58:59]
	s_and_b32 vcc_lo, s1, vcc_lo
	v_cndmask_b32_e64 v13, 0, v4, s1
	s_wait_alu 0xfffe
	v_cndmask_b32_e32 v57, 0x3ff00000, v5, vcc_lo
	v_cndmask_b32_e32 v56, 0, v5, vcc_lo
	v_cmp_nlt_f64_e32 vcc_lo, 0x40900000, v[46:47]
	s_mov_b32 s10, 0xd9928ced
	v_cndmask_b32_e64 v4, v4, v13, s3
	v_bfi_b32 v12, 0x7fffffff, v12, v57
	v_cndmask_b32_e64 v57, 0x7ff00000, 0, s0
	s_mov_b32 s11, 0x3b97fd57
	s_delay_alu instid0(VALU_DEP_2) | instskip(NEXT) | instid1(VALU_DEP_2)
	v_cndmask_b32_e64 v64, 0x7ff80000, v12, s1
	v_bfi_b32 v13, 0x7fffffff, v57, v56
	s_mov_b32 s0, 0xd340d1f4
	s_mov_b32 s1, 0x3c8fef98
	s_delay_alu instid0(VALU_DEP_2) | instskip(SKIP_1) | instid1(VALU_DEP_2)
	v_cndmask_b32_e64 v56, v12, v64, s3
	v_cndmask_b32_e64 v12, v4, 0, s6
	;; [unrolled: 1-line block ×3, first 2 shown]
	v_fma_f64 v[56:57], v[86:87], v[60:61], 1.0
	v_fma_f64 v[60:61], v[50:51], v[62:63], s[20:21]
	v_mul_f64_e32 v[62:63], 0.5, v[52:53]
	s_wait_alu 0xfffe
	v_mul_f64_e32 v[12:13], s[0:1], v[12:13]
	v_cmp_nlt_f64_e64 s1, 0x40900000, v[48:49]
	v_cmp_ngt_f64_e64 s0, 0xc090cc00, v[46:47]
	v_cvt_i32_f64_e32 v49, v[80:81]
	s_wait_alu 0xfffd
	v_cndmask_b32_e32 v4, 0x7ff00000, v45, vcc_lo
	v_fma_f64 v[45:46], v[86:87], v[56:57], 1.0
	v_fma_f64 v[47:48], v[50:51], v[60:61], s[18:19]
	v_mul_f64_e32 v[60:61], s[10:11], v[2:3]
	s_mov_b32 s11, 0x3a858a47
	v_cndmask_b32_e64 v13, v13, 0x7ff80000, s5
	s_wait_alu 0xf1ff
	v_cndmask_b32_e64 v59, 0x7ff00000, v59, s1
	s_and_b32 vcc_lo, s0, vcc_lo
	v_cndmask_b32_e64 v12, v12, 0, s5
	s_wait_alu 0xfffe
	v_cndmask_b32_e32 v56, 0, v44, vcc_lo
	s_and_b32 vcc_lo, s2, s1
	v_cndmask_b32_e64 v57, 0, v4, s0
	v_cndmask_b32_e64 v59, 0, v59, s2
	s_wait_alu 0xfffe
	v_cndmask_b32_e32 v58, 0, v58, vcc_lo
	s_mov_b32 s0, 0xc1c0e6ac
	s_mov_b32 s1, 0x3b91b7e3
	v_mul_f64_e32 v[12:13], v[56:57], v[12:13]
	v_cmp_neq_f64_e64 vcc_lo, 0x7ff00000, |v[78:79]|
	v_mul_f64_e32 v[56:57], v[20:21], v[58:59]
	s_wait_alu 0xfffe
	v_mul_f64_e32 v[58:59], s[0:1], v[2:3]
	s_mov_b32 s0, 0xa38e75eb
	s_mov_b32 s1, 0x3b82b358
	;; [unrolled: 1-line block ×3, first 2 shown]
	s_wait_alu 0xfffe
	v_mul_f64_e32 v[54:55], s[10:11], v[2:3]
	s_mov_b32 s11, 0x3aa58a47
	v_ldexp_f64 v[44:45], v[45:46], v49
	v_fma_f64 v[47:48], v[50:51], v[47:48], s[16:17]
	v_mul_f64_e32 v[26:27], v[60:61], v[26:27]
	v_mul_f64_e32 v[60:61], s[0:1], v[2:3]
	v_cmp_nlt_f64_e64 s0, 0x40900000, v[78:79]
	v_cmp_ngt_f64_e64 s1, 0xc090cc00, v[78:79]
	v_mul_f64_e32 v[12:13], v[20:21], v[12:13]
	s_wait_alu 0xfffd
	v_cndmask_b32_e32 v11, 0, v11, vcc_lo
	v_mul_f64_e32 v[56:57], v[56:57], v[30:31]
	v_mul_f64_e32 v[24:25], v[58:59], v[24:25]
	v_cndmask_b32_e32 v10, 0, v10, vcc_lo
	v_fma_f64 v[46:47], v[50:51], v[47:48], s[14:15]
	v_mul_f64_e32 v[26:27], v[20:21], v[26:27]
	v_mul_f64_e32 v[22:23], v[60:61], v[22:23]
	s_wait_alu 0xf1ff
	v_cndmask_b32_e64 v4, 0x7ff00000, v45, s0
	s_and_b32 vcc_lo, s1, s0
	s_wait_alu 0xfffe
	v_cndmask_b32_e32 v58, 0, v44, vcc_lo
	s_delay_alu instid0(VALU_DEP_2) | instskip(SKIP_1) | instid1(VALU_DEP_2)
	v_cndmask_b32_e64 v59, 0, v4, s1
	v_cvt_i32_f64_e32 v4, v[88:89]
	v_fma_f64 v[10:11], v[58:59], v[10:11], v[58:59]
	v_mul_f64_e32 v[12:13], v[12:13], v[30:31]
	v_cmp_class_f64_e64 s0, v[58:59], 0x204
	v_mul_f64_e32 v[48:49], v[56:57], v[36:37]
	v_mul_f64_e32 v[24:25], v[20:21], v[24:25]
	v_trunc_f64_e32 v[56:57], v[62:63]
	v_fma_f64 v[45:46], v[50:51], v[46:47], 1.0
	v_mul_f64_e32 v[26:27], v[26:27], v[30:31]
	v_mul_f64_e32 v[20:21], v[20:21], v[22:23]
	s_wait_alu 0xf1ff
	v_cndmask_b32_e64 v10, v10, v58, s0
	v_fma_f64 v[12:13], v[12:13], v[28:29], v[48:49]
	v_trunc_f64_e32 v[47:48], v[52:53]
	v_mul_f64_e32 v[22:23], v[24:25], v[30:31]
	v_cmp_neq_f64_e32 vcc_lo, v[56:57], v[62:63]
	v_fma_f64 v[44:45], v[50:51], v[45:46], 1.0
	v_mul_f64_e32 v[49:50], v[54:55], v[14:15]
	v_mul_f64_e32 v[20:21], v[20:21], v[30:31]
	v_fma_f64 v[12:13], v[26:27], v[36:37], v[12:13]
	v_cmp_eq_f64_e64 s1, v[47:48], v[52:53]
	v_mul_f64_e32 v[26:27], s[10:11], v[2:3]
	v_ldexp_f64 v[24:25], v[44:45], v4
	v_mul_f64_e32 v[36:37], v[49:50], v[18:19]
	v_cndmask_b32_e64 v4, v11, v59, s0
	v_fma_f64 v[12:13], v[22:23], v[40:41], v[12:13]
	s_and_b32 vcc_lo, s1, vcc_lo
	v_cndmask_b32_e64 v11, 0, v10, s1
	s_wait_alu 0xfffe
	v_cndmask_b32_e32 v22, 0, v5, vcc_lo
	v_cndmask_b32_e32 v5, 0x3ff00000, v5, vcc_lo
	v_mul_f64_e32 v[14:15], v[26:27], v[14:15]
	v_cmp_nlt_f64_e32 vcc_lo, 0x40900000, v[42:43]
	v_cndmask_b32_e64 v10, v10, v11, s3
	s_delay_alu instid0(VALU_DEP_4) | instskip(SKIP_1) | instid1(VALU_DEP_2)
	v_bfi_b32 v4, 0x7fffffff, v4, v5
	v_cndmask_b32_e64 v5, 0x7ff00000, 0, s4
	v_cndmask_b32_e64 v23, 0x7ff80000, v4, s1
	s_delay_alu instid0(VALU_DEP_2) | instskip(SKIP_2) | instid1(VALU_DEP_2)
	v_bfi_b32 v5, 0x7fffffff, v5, v22
	s_mov_b32 s0, 0x653aaa2f
	s_mov_b32 s1, 0x3a933025
	v_cndmask_b32_e64 v11, v4, v23, s3
	v_cndmask_b32_e64 v4, v10, 0, s6
	s_mov_b32 s2, 0x9999999a
	s_mov_b32 s3, 0x3ff19999
	v_mul_f64_e32 v[22:23], v[36:37], v[30:31]
	v_cndmask_b32_e64 v5, v11, v5, s6
	s_mov_b32 s6, 0x5c28f5c3
	s_mov_b32 s7, 0x3fd5c28f
	s_wait_alu 0xfffe
	v_fma_f64 v[10:11], v[24:25], s[6:7], s[2:3]
	v_mul_f64_e32 v[4:5], s[0:1], v[4:5]
	s_mov_b32 s0, 0x21f01b65
	s_mov_b32 s1, 0x3d417392
	s_wait_alu 0xfffe
	v_mul_f64_e32 v[8:9], s[0:1], v[8:9]
	s_mov_b32 s0, 0x6280eee3
	s_mov_b32 s1, 0x3a5c2041
	v_fma_f64 v[12:13], v[20:21], v[28:29], v[12:13]
	s_wait_alu 0xfffe
	s_delay_alu instid0(VALU_DEP_4) | instskip(NEXT) | instid1(VALU_DEP_4)
	v_mul_f64_e32 v[10:11], s[0:1], v[10:11]
	v_cndmask_b32_e64 v5, v5, 0x7ff80000, s5
	v_cndmask_b32_e64 v4, v4, 0, s5
	v_mul_f64_e32 v[6:7], v[6:7], v[8:9]
	v_mul_f64_e32 v[8:9], v[14:15], v[18:19]
	s_delay_alu instid0(VALU_DEP_3)
	v_mul_f64_e32 v[4:5], v[4:5], v[30:31]
	v_fma_f64 v[12:13], v[22:23], v[32:33], v[12:13]
	s_wait_alu 0xfffd
	v_cndmask_b32_e32 v14, 0, v10, vcc_lo
	v_cndmask_b32_e32 v15, 0x7ff00000, v11, vcc_lo
	v_cmp_ngt_f64_e32 vcc_lo, 0xc090cc00, v[42:43]
	v_add_f64_e32 v[10:11], v[28:29], v[32:33]
	v_mul_f64_e32 v[6:7], v[16:17], v[6:7]
	v_mul_f64_e32 v[8:9], v[8:9], v[30:31]
	v_fma_f64 v[4:5], v[4:5], v[28:29], v[12:13]
	s_wait_alu 0xfffd
	v_cndmask_b32_e32 v13, 0x3a5ef047, v15, vcc_lo
	v_cndmask_b32_e32 v12, 0xec5aa061, v14, vcc_lo
	v_fma_f64 v[10:11], v[34:35], 4.0, v[10:11]
	v_mul_f64_e32 v[6:7], v[6:7], v[30:31]
	s_wait_kmcnt 0x0
	v_add_co_u32 v0, vcc_lo, s8, v0
	v_mul_f64_e32 v[2:3], v[2:3], v[12:13]
	s_wait_alu 0xfffd
	v_add_co_ci_u32_e64 v1, null, s9, v1, vcc_lo
	v_fma_f64 v[4:5], v[8:9], v[34:35], v[4:5]
	s_delay_alu instid0(VALU_DEP_3) | instskip(NEXT) | instid1(VALU_DEP_2)
	v_mul_f64_e32 v[2:3], v[2:3], v[10:11]
	v_fma_f64 v[4:5], v[6:7], v[28:29], v[4:5]
	s_delay_alu instid0(VALU_DEP_1) | instskip(NEXT) | instid1(VALU_DEP_1)
	v_fma_f64 v[2:3], v[30:31], v[2:3], v[4:5]
	v_add_f64_e64 v[2:3], v[2:3], -v[38:39]
	global_store_b64 v[0:1], v[2:3], off
.LBB0_11:
	s_endpgm
	.section	.rodata,"a",@progbits
	.p2align	6, 0x0
	.amdhsa_kernel _Z11cool_kernelidPKdPdi
		.amdhsa_group_segment_fixed_size 0
		.amdhsa_private_segment_fixed_size 0
		.amdhsa_kernarg_size 296
		.amdhsa_user_sgpr_count 2
		.amdhsa_user_sgpr_dispatch_ptr 0
		.amdhsa_user_sgpr_queue_ptr 0
		.amdhsa_user_sgpr_kernarg_segment_ptr 1
		.amdhsa_user_sgpr_dispatch_id 0
		.amdhsa_user_sgpr_private_segment_size 0
		.amdhsa_wavefront_size32 1
		.amdhsa_uses_dynamic_stack 0
		.amdhsa_enable_private_segment 0
		.amdhsa_system_sgpr_workgroup_id_x 1
		.amdhsa_system_sgpr_workgroup_id_y 0
		.amdhsa_system_sgpr_workgroup_id_z 0
		.amdhsa_system_sgpr_workgroup_info 0
		.amdhsa_system_vgpr_workitem_id 0
		.amdhsa_next_free_vgpr 93
		.amdhsa_next_free_sgpr 50
		.amdhsa_reserve_vcc 1
		.amdhsa_float_round_mode_32 0
		.amdhsa_float_round_mode_16_64 0
		.amdhsa_float_denorm_mode_32 3
		.amdhsa_float_denorm_mode_16_64 3
		.amdhsa_fp16_overflow 0
		.amdhsa_workgroup_processor_mode 1
		.amdhsa_memory_ordered 1
		.amdhsa_forward_progress 1
		.amdhsa_inst_pref_size 106
		.amdhsa_round_robin_scheduling 0
		.amdhsa_exception_fp_ieee_invalid_op 0
		.amdhsa_exception_fp_denorm_src 0
		.amdhsa_exception_fp_ieee_div_zero 0
		.amdhsa_exception_fp_ieee_overflow 0
		.amdhsa_exception_fp_ieee_underflow 0
		.amdhsa_exception_fp_ieee_inexact 0
		.amdhsa_exception_int_div_zero 0
	.end_amdhsa_kernel
	.text
.Lfunc_end0:
	.size	_Z11cool_kernelidPKdPdi, .Lfunc_end0-_Z11cool_kernelidPKdPdi
                                        ; -- End function
	.set _Z11cool_kernelidPKdPdi.num_vgpr, 93
	.set _Z11cool_kernelidPKdPdi.num_agpr, 0
	.set _Z11cool_kernelidPKdPdi.numbered_sgpr, 50
	.set _Z11cool_kernelidPKdPdi.num_named_barrier, 0
	.set _Z11cool_kernelidPKdPdi.private_seg_size, 0
	.set _Z11cool_kernelidPKdPdi.uses_vcc, 1
	.set _Z11cool_kernelidPKdPdi.uses_flat_scratch, 0
	.set _Z11cool_kernelidPKdPdi.has_dyn_sized_stack, 0
	.set _Z11cool_kernelidPKdPdi.has_recursion, 0
	.set _Z11cool_kernelidPKdPdi.has_indirect_call, 0
	.section	.AMDGPU.csdata,"",@progbits
; Kernel info:
; codeLenInByte = 13476
; TotalNumSgprs: 52
; NumVgprs: 93
; ScratchSize: 0
; MemoryBound: 0
; FloatMode: 240
; IeeeMode: 1
; LDSByteSize: 0 bytes/workgroup (compile time only)
; SGPRBlocks: 0
; VGPRBlocks: 11
; NumSGPRsForWavesPerEU: 52
; NumVGPRsForWavesPerEU: 93
; Occupancy: 16
; WaveLimiterHint : 0
; COMPUTE_PGM_RSRC2:SCRATCH_EN: 0
; COMPUTE_PGM_RSRC2:USER_SGPR: 2
; COMPUTE_PGM_RSRC2:TRAP_HANDLER: 0
; COMPUTE_PGM_RSRC2:TGID_X_EN: 1
; COMPUTE_PGM_RSRC2:TGID_Y_EN: 0
; COMPUTE_PGM_RSRC2:TGID_Z_EN: 0
; COMPUTE_PGM_RSRC2:TIDIG_COMP_CNT: 0
	.text
	.p2alignl 7, 3214868480
	.fill 96, 4, 3214868480
	.section	.AMDGPU.gpr_maximums,"",@progbits
	.set amdgpu.max_num_vgpr, 0
	.set amdgpu.max_num_agpr, 0
	.set amdgpu.max_num_sgpr, 0
	.text
	.type	__hip_cuid_4de2aaa5571ce5cd,@object ; @__hip_cuid_4de2aaa5571ce5cd
	.section	.bss,"aw",@nobits
	.globl	__hip_cuid_4de2aaa5571ce5cd
__hip_cuid_4de2aaa5571ce5cd:
	.byte	0                               ; 0x0
	.size	__hip_cuid_4de2aaa5571ce5cd, 1

	.ident	"AMD clang version 22.0.0git (https://github.com/RadeonOpenCompute/llvm-project roc-7.2.4 26084 f58b06dce1f9c15707c5f808fd002e18c2accf7e)"
	.section	".note.GNU-stack","",@progbits
	.addrsig
	.addrsig_sym __hip_cuid_4de2aaa5571ce5cd
	.amdgpu_metadata
---
amdhsa.kernels:
  - .args:
      - .offset:         0
        .size:           4
        .value_kind:     by_value
      - .offset:         8
        .size:           8
        .value_kind:     by_value
      - .actual_access:  read_only
        .address_space:  global
        .offset:         16
        .size:           8
        .value_kind:     global_buffer
      - .actual_access:  write_only
        .address_space:  global
        .offset:         24
        .size:           8
        .value_kind:     global_buffer
      - .offset:         32
        .size:           4
        .value_kind:     by_value
      - .offset:         40
        .size:           4
        .value_kind:     hidden_block_count_x
      - .offset:         44
        .size:           4
        .value_kind:     hidden_block_count_y
      - .offset:         48
        .size:           4
        .value_kind:     hidden_block_count_z
      - .offset:         52
        .size:           2
        .value_kind:     hidden_group_size_x
      - .offset:         54
        .size:           2
        .value_kind:     hidden_group_size_y
      - .offset:         56
        .size:           2
        .value_kind:     hidden_group_size_z
      - .offset:         58
        .size:           2
        .value_kind:     hidden_remainder_x
      - .offset:         60
        .size:           2
        .value_kind:     hidden_remainder_y
      - .offset:         62
        .size:           2
        .value_kind:     hidden_remainder_z
      - .offset:         80
        .size:           8
        .value_kind:     hidden_global_offset_x
      - .offset:         88
        .size:           8
        .value_kind:     hidden_global_offset_y
      - .offset:         96
        .size:           8
        .value_kind:     hidden_global_offset_z
      - .offset:         104
        .size:           2
        .value_kind:     hidden_grid_dims
    .group_segment_fixed_size: 0
    .kernarg_segment_align: 8
    .kernarg_segment_size: 296
    .language:       OpenCL C
    .language_version:
      - 2
      - 0
    .max_flat_workgroup_size: 1024
    .name:           _Z11cool_kernelidPKdPdi
    .private_segment_fixed_size: 0
    .sgpr_count:     52
    .sgpr_spill_count: 0
    .symbol:         _Z11cool_kernelidPKdPdi.kd
    .uniform_work_group_size: 1
    .uses_dynamic_stack: false
    .vgpr_count:     93
    .vgpr_spill_count: 0
    .wavefront_size: 32
    .workgroup_processor_mode: 1
amdhsa.target:   amdgcn-amd-amdhsa--gfx1201
amdhsa.version:
  - 1
  - 2
...

	.end_amdgpu_metadata
